;; amdgpu-corpus repo=ROCm/rocFFT kind=compiled arch=gfx906 opt=O3
	.text
	.amdgcn_target "amdgcn-amd-amdhsa--gfx906"
	.amdhsa_code_object_version 6
	.protected	fft_rtc_fwd_len1680_factors_2_2_2_2_3_7_5_wgs_112_tpt_112_halfLds_sp_ip_CI_sbrr_dirReg ; -- Begin function fft_rtc_fwd_len1680_factors_2_2_2_2_3_7_5_wgs_112_tpt_112_halfLds_sp_ip_CI_sbrr_dirReg
	.globl	fft_rtc_fwd_len1680_factors_2_2_2_2_3_7_5_wgs_112_tpt_112_halfLds_sp_ip_CI_sbrr_dirReg
	.p2align	8
	.type	fft_rtc_fwd_len1680_factors_2_2_2_2_3_7_5_wgs_112_tpt_112_halfLds_sp_ip_CI_sbrr_dirReg,@function
fft_rtc_fwd_len1680_factors_2_2_2_2_3_7_5_wgs_112_tpt_112_halfLds_sp_ip_CI_sbrr_dirReg: ; @fft_rtc_fwd_len1680_factors_2_2_2_2_3_7_5_wgs_112_tpt_112_halfLds_sp_ip_CI_sbrr_dirReg
; %bb.0:
	s_load_dwordx2 s[14:15], s[4:5], 0x18
	s_load_dwordx4 s[8:11], s[4:5], 0x0
	s_load_dwordx2 s[12:13], s[4:5], 0x50
	v_mul_u32_u24_e32 v1, 0x24a, v0
	v_add_u32_sdwa v5, s6, v1 dst_sel:DWORD dst_unused:UNUSED_PAD src0_sel:DWORD src1_sel:WORD_1
	s_waitcnt lgkmcnt(0)
	s_load_dwordx2 s[2:3], s[14:15], 0x0
	v_cmp_lt_u64_e64 s[0:1], s[10:11], 2
	v_mov_b32_e32 v3, 0
	v_mov_b32_e32 v1, 0
	;; [unrolled: 1-line block ×3, first 2 shown]
	s_and_b64 vcc, exec, s[0:1]
	v_mov_b32_e32 v2, 0
	s_cbranch_vccnz .LBB0_8
; %bb.1:
	s_load_dwordx2 s[0:1], s[4:5], 0x10
	s_add_u32 s6, s14, 8
	s_addc_u32 s7, s15, 0
	v_mov_b32_e32 v1, 0
	v_mov_b32_e32 v2, 0
	s_waitcnt lgkmcnt(0)
	s_add_u32 s16, s0, 8
	s_addc_u32 s17, s1, 0
	s_mov_b64 s[18:19], 1
.LBB0_2:                                ; =>This Inner Loop Header: Depth=1
	s_load_dwordx2 s[20:21], s[16:17], 0x0
                                        ; implicit-def: $vgpr7_vgpr8
	s_waitcnt lgkmcnt(0)
	v_or_b32_e32 v4, s21, v6
	v_cmp_ne_u64_e32 vcc, 0, v[3:4]
	s_and_saveexec_b64 s[0:1], vcc
	s_xor_b64 s[22:23], exec, s[0:1]
	s_cbranch_execz .LBB0_4
; %bb.3:                                ;   in Loop: Header=BB0_2 Depth=1
	v_cvt_f32_u32_e32 v4, s20
	v_cvt_f32_u32_e32 v7, s21
	s_sub_u32 s0, 0, s20
	s_subb_u32 s1, 0, s21
	v_mac_f32_e32 v4, 0x4f800000, v7
	v_rcp_f32_e32 v4, v4
	v_mul_f32_e32 v4, 0x5f7ffffc, v4
	v_mul_f32_e32 v7, 0x2f800000, v4
	v_trunc_f32_e32 v7, v7
	v_mac_f32_e32 v4, 0xcf800000, v7
	v_cvt_u32_f32_e32 v7, v7
	v_cvt_u32_f32_e32 v4, v4
	v_mul_lo_u32 v8, s0, v7
	v_mul_hi_u32 v9, s0, v4
	v_mul_lo_u32 v11, s1, v4
	v_mul_lo_u32 v10, s0, v4
	v_add_u32_e32 v8, v9, v8
	v_add_u32_e32 v8, v8, v11
	v_mul_hi_u32 v9, v4, v10
	v_mul_lo_u32 v11, v4, v8
	v_mul_hi_u32 v13, v4, v8
	v_mul_hi_u32 v12, v7, v10
	v_mul_lo_u32 v10, v7, v10
	v_mul_hi_u32 v14, v7, v8
	v_add_co_u32_e32 v9, vcc, v9, v11
	v_addc_co_u32_e32 v11, vcc, 0, v13, vcc
	v_mul_lo_u32 v8, v7, v8
	v_add_co_u32_e32 v9, vcc, v9, v10
	v_addc_co_u32_e32 v9, vcc, v11, v12, vcc
	v_addc_co_u32_e32 v10, vcc, 0, v14, vcc
	v_add_co_u32_e32 v8, vcc, v9, v8
	v_addc_co_u32_e32 v9, vcc, 0, v10, vcc
	v_add_co_u32_e32 v4, vcc, v4, v8
	v_addc_co_u32_e32 v7, vcc, v7, v9, vcc
	v_mul_lo_u32 v8, s0, v7
	v_mul_hi_u32 v9, s0, v4
	v_mul_lo_u32 v10, s1, v4
	v_mul_lo_u32 v11, s0, v4
	v_add_u32_e32 v8, v9, v8
	v_add_u32_e32 v8, v8, v10
	v_mul_lo_u32 v12, v4, v8
	v_mul_hi_u32 v13, v4, v11
	v_mul_hi_u32 v14, v4, v8
	;; [unrolled: 1-line block ×3, first 2 shown]
	v_mul_lo_u32 v11, v7, v11
	v_mul_hi_u32 v9, v7, v8
	v_add_co_u32_e32 v12, vcc, v13, v12
	v_addc_co_u32_e32 v13, vcc, 0, v14, vcc
	v_mul_lo_u32 v8, v7, v8
	v_add_co_u32_e32 v11, vcc, v12, v11
	v_addc_co_u32_e32 v10, vcc, v13, v10, vcc
	v_addc_co_u32_e32 v9, vcc, 0, v9, vcc
	v_add_co_u32_e32 v8, vcc, v10, v8
	v_addc_co_u32_e32 v9, vcc, 0, v9, vcc
	v_add_co_u32_e32 v4, vcc, v4, v8
	v_addc_co_u32_e32 v9, vcc, v7, v9, vcc
	v_mad_u64_u32 v[7:8], s[0:1], v5, v9, 0
	v_mul_hi_u32 v10, v5, v4
	v_add_co_u32_e32 v11, vcc, v10, v7
	v_addc_co_u32_e32 v12, vcc, 0, v8, vcc
	v_mad_u64_u32 v[7:8], s[0:1], v6, v4, 0
	v_mad_u64_u32 v[9:10], s[0:1], v6, v9, 0
	v_add_co_u32_e32 v4, vcc, v11, v7
	v_addc_co_u32_e32 v4, vcc, v12, v8, vcc
	v_addc_co_u32_e32 v7, vcc, 0, v10, vcc
	v_add_co_u32_e32 v4, vcc, v4, v9
	v_addc_co_u32_e32 v9, vcc, 0, v7, vcc
	v_mul_lo_u32 v10, s21, v4
	v_mul_lo_u32 v11, s20, v9
	v_mad_u64_u32 v[7:8], s[0:1], s20, v4, 0
	v_add3_u32 v8, v8, v11, v10
	v_sub_u32_e32 v10, v6, v8
	v_mov_b32_e32 v11, s21
	v_sub_co_u32_e32 v7, vcc, v5, v7
	v_subb_co_u32_e64 v10, s[0:1], v10, v11, vcc
	v_subrev_co_u32_e64 v11, s[0:1], s20, v7
	v_subbrev_co_u32_e64 v10, s[0:1], 0, v10, s[0:1]
	v_cmp_le_u32_e64 s[0:1], s21, v10
	v_cndmask_b32_e64 v12, 0, -1, s[0:1]
	v_cmp_le_u32_e64 s[0:1], s20, v11
	v_cndmask_b32_e64 v11, 0, -1, s[0:1]
	v_cmp_eq_u32_e64 s[0:1], s21, v10
	v_cndmask_b32_e64 v10, v12, v11, s[0:1]
	v_add_co_u32_e64 v11, s[0:1], 2, v4
	v_addc_co_u32_e64 v12, s[0:1], 0, v9, s[0:1]
	v_add_co_u32_e64 v13, s[0:1], 1, v4
	v_addc_co_u32_e64 v14, s[0:1], 0, v9, s[0:1]
	v_subb_co_u32_e32 v8, vcc, v6, v8, vcc
	v_cmp_ne_u32_e64 s[0:1], 0, v10
	v_cmp_le_u32_e32 vcc, s21, v8
	v_cndmask_b32_e64 v10, v14, v12, s[0:1]
	v_cndmask_b32_e64 v12, 0, -1, vcc
	v_cmp_le_u32_e32 vcc, s20, v7
	v_cndmask_b32_e64 v7, 0, -1, vcc
	v_cmp_eq_u32_e32 vcc, s21, v8
	v_cndmask_b32_e32 v7, v12, v7, vcc
	v_cmp_ne_u32_e32 vcc, 0, v7
	v_cndmask_b32_e64 v7, v13, v11, s[0:1]
	v_cndmask_b32_e32 v8, v9, v10, vcc
	v_cndmask_b32_e32 v7, v4, v7, vcc
.LBB0_4:                                ;   in Loop: Header=BB0_2 Depth=1
	s_andn2_saveexec_b64 s[0:1], s[22:23]
	s_cbranch_execz .LBB0_6
; %bb.5:                                ;   in Loop: Header=BB0_2 Depth=1
	v_cvt_f32_u32_e32 v4, s20
	s_sub_i32 s22, 0, s20
	v_rcp_iflag_f32_e32 v4, v4
	v_mul_f32_e32 v4, 0x4f7ffffe, v4
	v_cvt_u32_f32_e32 v4, v4
	v_mul_lo_u32 v7, s22, v4
	v_mul_hi_u32 v7, v4, v7
	v_add_u32_e32 v4, v4, v7
	v_mul_hi_u32 v4, v5, v4
	v_mul_lo_u32 v7, v4, s20
	v_add_u32_e32 v8, 1, v4
	v_sub_u32_e32 v7, v5, v7
	v_subrev_u32_e32 v9, s20, v7
	v_cmp_le_u32_e32 vcc, s20, v7
	v_cndmask_b32_e32 v7, v7, v9, vcc
	v_cndmask_b32_e32 v4, v4, v8, vcc
	v_add_u32_e32 v8, 1, v4
	v_cmp_le_u32_e32 vcc, s20, v7
	v_cndmask_b32_e32 v7, v4, v8, vcc
	v_mov_b32_e32 v8, v3
.LBB0_6:                                ;   in Loop: Header=BB0_2 Depth=1
	s_or_b64 exec, exec, s[0:1]
	v_mul_lo_u32 v4, v8, s20
	v_mul_lo_u32 v11, v7, s21
	v_mad_u64_u32 v[9:10], s[0:1], v7, s20, 0
	s_load_dwordx2 s[0:1], s[6:7], 0x0
	s_add_u32 s18, s18, 1
	v_add3_u32 v4, v10, v11, v4
	v_sub_co_u32_e32 v5, vcc, v5, v9
	v_subb_co_u32_e32 v4, vcc, v6, v4, vcc
	s_waitcnt lgkmcnt(0)
	v_mul_lo_u32 v4, s0, v4
	v_mul_lo_u32 v6, s1, v5
	v_mad_u64_u32 v[1:2], s[0:1], s0, v5, v[1:2]
	s_addc_u32 s19, s19, 0
	s_add_u32 s6, s6, 8
	v_add3_u32 v2, v6, v2, v4
	v_mov_b32_e32 v4, s10
	v_mov_b32_e32 v5, s11
	s_addc_u32 s7, s7, 0
	v_cmp_ge_u64_e32 vcc, s[18:19], v[4:5]
	s_add_u32 s16, s16, 8
	s_addc_u32 s17, s17, 0
	s_cbranch_vccnz .LBB0_9
; %bb.7:                                ;   in Loop: Header=BB0_2 Depth=1
	v_mov_b32_e32 v5, v7
	v_mov_b32_e32 v6, v8
	s_branch .LBB0_2
.LBB0_8:
	v_mov_b32_e32 v8, v6
	v_mov_b32_e32 v7, v5
.LBB0_9:
	s_lshl_b64 s[0:1], s[10:11], 3
	s_add_u32 s0, s14, s0
	s_addc_u32 s1, s15, s1
	s_load_dwordx2 s[6:7], s[0:1], 0x0
	s_load_dwordx2 s[10:11], s[4:5], 0x20
                                        ; implicit-def: $vgpr50
                                        ; implicit-def: $vgpr49
                                        ; implicit-def: $vgpr41
                                        ; implicit-def: $vgpr51
                                        ; implicit-def: $vgpr52
                                        ; implicit-def: $vgpr53
	s_waitcnt lgkmcnt(0)
	v_mad_u64_u32 v[1:2], s[0:1], s6, v7, v[1:2]
	s_mov_b32 s0, 0x2492493
	v_mul_lo_u32 v3, s6, v8
	v_mul_lo_u32 v4, s7, v7
	v_mul_hi_u32 v5, v0, s0
	v_cmp_gt_u64_e32 vcc, s[10:11], v[7:8]
	v_cmp_le_u64_e64 s[0:1], s[10:11], v[7:8]
	v_add3_u32 v2, v4, v2, v3
	v_mul_u32_u24_e32 v3, 0x70, v5
	v_sub_u32_e32 v42, v0, v3
	s_and_saveexec_b64 s[4:5], s[0:1]
	s_xor_b64 s[0:1], exec, s[4:5]
; %bb.10:
	v_add_u32_e32 v50, 0x70, v42
	v_add_u32_e32 v49, 0xe0, v42
	;; [unrolled: 1-line block ×6, first 2 shown]
; %bb.11:
	s_or_saveexec_b64 s[4:5], s[0:1]
	v_lshlrev_b64 v[0:1], 3, v[1:2]
                                        ; implicit-def: $vgpr4
                                        ; implicit-def: $vgpr10
                                        ; implicit-def: $vgpr8
                                        ; implicit-def: $vgpr12
                                        ; implicit-def: $vgpr14
                                        ; implicit-def: $vgpr18
                                        ; implicit-def: $vgpr16
                                        ; implicit-def: $vgpr22
                                        ; implicit-def: $vgpr20
                                        ; implicit-def: $vgpr26
                                        ; implicit-def: $vgpr24
                                        ; implicit-def: $vgpr38
                                        ; implicit-def: $vgpr40
                                        ; implicit-def: $vgpr33
                                        ; implicit-def: $vgpr29
                                        ; implicit-def: $vgpr31
	s_xor_b64 exec, exec, s[4:5]
	s_cbranch_execz .LBB0_15
; %bb.12:
	v_mad_u64_u32 v[3:4], s[0:1], s2, v42, 0
	v_add_u32_e32 v9, 0x348, v42
	v_mad_u64_u32 v[6:7], s[0:1], s2, v9, 0
	v_mov_b32_e32 v2, v4
	v_mad_u64_u32 v[4:5], s[0:1], s3, v42, v[2:3]
	v_mov_b32_e32 v8, s13
	v_add_co_u32_e64 v2, s[0:1], s12, v0
	v_addc_co_u32_e64 v5, s[0:1], v8, v1, s[0:1]
	v_mad_u64_u32 v[7:8], s[0:1], s3, v9, v[7:8]
	v_add_u32_e32 v50, 0x70, v42
	v_mad_u64_u32 v[8:9], s[0:1], s2, v50, 0
	v_lshlrev_b64 v[3:4], 3, v[3:4]
	v_add_u32_e32 v49, 0xe0, v42
	v_add_co_u32_e64 v34, s[0:1], v2, v3
	v_addc_co_u32_e64 v35, s[0:1], v5, v4, s[0:1]
	v_lshlrev_b64 v[3:4], 3, v[6:7]
	v_mov_b32_e32 v6, v9
	v_mad_u64_u32 v[6:7], s[0:1], s3, v50, v[6:7]
	v_add_u32_e32 v7, 0x3b8, v42
	v_mad_u64_u32 v[10:11], s[0:1], s2, v7, 0
	v_add_co_u32_e64 v36, s[0:1], v2, v3
	v_mov_b32_e32 v9, v6
	v_mov_b32_e32 v6, v11
	v_addc_co_u32_e64 v37, s[0:1], v5, v4, s[0:1]
	v_mad_u64_u32 v[6:7], s[0:1], s3, v7, v[6:7]
	v_lshlrev_b64 v[3:4], 3, v[8:9]
	v_mad_u64_u32 v[7:8], s[0:1], s2, v49, 0
	v_add_co_u32_e64 v38, s[0:1], v2, v3
	v_mov_b32_e32 v11, v6
	v_mov_b32_e32 v6, v8
	v_addc_co_u32_e64 v39, s[0:1], v5, v4, s[0:1]
	v_lshlrev_b64 v[3:4], 3, v[10:11]
	v_mad_u64_u32 v[8:9], s[0:1], s3, v49, v[6:7]
	v_add_u32_e32 v11, 0x428, v42
	v_mad_u64_u32 v[9:10], s[0:1], s2, v11, 0
	v_add_co_u32_e64 v43, s[0:1], v2, v3
	v_mov_b32_e32 v6, v10
	v_addc_co_u32_e64 v44, s[0:1], v5, v4, s[0:1]
	v_lshlrev_b64 v[3:4], 3, v[7:8]
	v_mad_u64_u32 v[6:7], s[0:1], s3, v11, v[6:7]
	v_add_u32_e32 v41, 0x150, v42
	v_mad_u64_u32 v[7:8], s[0:1], s2, v41, 0
	v_add_co_u32_e64 v45, s[0:1], v2, v3
	v_mov_b32_e32 v10, v6
	v_mov_b32_e32 v6, v8
	v_addc_co_u32_e64 v46, s[0:1], v5, v4, s[0:1]
	v_lshlrev_b64 v[3:4], 3, v[9:10]
	v_mad_u64_u32 v[8:9], s[0:1], s3, v41, v[6:7]
	v_add_u32_e32 v11, 0x498, v42
	v_mad_u64_u32 v[9:10], s[0:1], s2, v11, 0
	v_add_co_u32_e64 v47, s[0:1], v2, v3
	v_mov_b32_e32 v6, v10
	v_addc_co_u32_e64 v48, s[0:1], v5, v4, s[0:1]
	v_lshlrev_b64 v[3:4], 3, v[7:8]
	v_mad_u64_u32 v[6:7], s[0:1], s3, v11, v[6:7]
	v_add_u32_e32 v51, 0x1c0, v42
	;; [unrolled: 15-line block ×4, first 2 shown]
	v_mad_u64_u32 v[7:8], s[0:1], s2, v53, 0
	v_add_co_u32_e64 v62, s[0:1], v2, v3
	v_mov_b32_e32 v10, v6
	v_mov_b32_e32 v6, v8
	v_addc_co_u32_e64 v63, s[0:1], v5, v4, s[0:1]
	v_lshlrev_b64 v[3:4], 3, v[9:10]
	v_mad_u64_u32 v[8:9], s[0:1], s3, v53, v[6:7]
	v_add_u32_e32 v11, 0x5e8, v42
	v_mad_u64_u32 v[9:10], s[0:1], s2, v11, 0
	v_add_co_u32_e64 v64, s[0:1], v2, v3
	v_mov_b32_e32 v6, v10
	v_addc_co_u32_e64 v65, s[0:1], v5, v4, s[0:1]
	v_lshlrev_b64 v[3:4], 3, v[7:8]
	v_mad_u64_u32 v[6:7], s[0:1], s3, v11, v[6:7]
	v_add_co_u32_e64 v66, s[0:1], v2, v3
	v_mov_b32_e32 v10, v6
	v_addc_co_u32_e64 v67, s[0:1], v5, v4, s[0:1]
	v_lshlrev_b64 v[3:4], 3, v[9:10]
	v_add_co_u32_e64 v68, s[0:1], v2, v3
	v_addc_co_u32_e64 v69, s[0:1], v5, v4, s[0:1]
	global_load_dwordx2 v[3:4], v[34:35], off
	global_load_dwordx2 v[9:10], v[36:37], off
	;; [unrolled: 1-line block ×14, first 2 shown]
	v_cmp_gt_u32_e64 s[0:1], 56, v42
                                        ; implicit-def: $vgpr39
                                        ; implicit-def: $vgpr37
	s_and_saveexec_b64 s[6:7], s[0:1]
	s_cbranch_execz .LBB0_14
; %bb.13:
	v_add_u32_e32 v27, 0x310, v42
	v_mad_u64_u32 v[34:35], s[0:1], s2, v27, 0
	v_add_u32_e32 v40, 0x658, v42
	v_mad_u64_u32 v[36:37], s[0:1], s2, v40, 0
	v_mov_b32_e32 v6, v35
	s_waitcnt vmcnt(11)
	v_mad_u64_u32 v[38:39], s[0:1], s3, v27, v[6:7]
	v_mov_b32_e32 v6, v37
	v_mov_b32_e32 v35, v38
	v_mad_u64_u32 v[37:38], s[0:1], s3, v40, v[6:7]
	v_lshlrev_b64 v[34:35], 3, v[34:35]
	v_add_co_u32_e64 v34, s[0:1], v2, v34
	v_lshlrev_b64 v[36:37], 3, v[36:37]
	v_addc_co_u32_e64 v35, s[0:1], v5, v35, s[0:1]
	v_add_co_u32_e64 v43, s[0:1], v2, v36
	v_addc_co_u32_e64 v44, s[0:1], v5, v37, s[0:1]
	global_load_dwordx2 v[37:38], v[34:35], off
	global_load_dwordx2 v[39:40], v[43:44], off
.LBB0_14:
	s_or_b64 exec, exec, s[6:7]
.LBB0_15:
	s_or_b64 exec, exec, s[4:5]
	s_waitcnt vmcnt(12)
	v_sub_f32_e32 v6, v3, v9
	v_fma_f32 v5, v3, 2.0, -v6
	s_waitcnt vmcnt(10)
	v_sub_f32_e32 v3, v7, v30
	v_fma_f32 v2, v7, 2.0, -v3
	v_lshl_add_u32 v30, v42, 3, 0
	v_lshl_add_u32 v45, v50, 3, 0
	ds_write_b64 v30, v[5:6]
	ds_write_b64 v45, v[2:3]
	s_waitcnt vmcnt(8)
	v_sub_f32_e32 v3, v11, v28
	v_fma_f32 v2, v11, 2.0, -v3
	v_lshl_add_u32 v46, v49, 3, 0
	ds_write_b64 v46, v[2:3]
	s_waitcnt vmcnt(6)
	v_sub_f32_e32 v3, v13, v17
	v_fma_f32 v2, v13, 2.0, -v3
	v_lshl_add_u32 v47, v41, 3, 0
	;; [unrolled: 5-line block ×4, first 2 shown]
	ds_write_b64 v48, v[2:3]
	s_waitcnt vmcnt(0)
	v_sub_f32_e32 v3, v23, v32
	v_sub_f32_e32 v7, v37, v39
	v_add_u32_e32 v43, 0x310, v42
	v_fma_f32 v2, v23, 2.0, -v3
	v_lshl_add_u32 v23, v53, 3, 0
	v_fma_f32 v6, v37, 2.0, -v7
	v_cmp_gt_u32_e64 s[0:1], 56, v42
	v_lshl_add_u32 v17, v43, 3, 0
	ds_write_b64 v23, v[2:3]
	s_and_saveexec_b64 s[4:5], s[0:1]
	s_cbranch_execz .LBB0_17
; %bb.16:
	ds_write_b64 v17, v[6:7]
.LBB0_17:
	s_or_b64 exec, exec, s[4:5]
	v_lshlrev_b32_e32 v2, 2, v42
	v_sub_u32_e32 v44, v30, v2
	v_add_u32_e32 v3, 0xc00, v44
	s_waitcnt lgkmcnt(0)
	s_barrier
	ds_read2_b32 v[27:28], v3 offset0:72 offset1:184
	v_lshlrev_b32_e32 v3, 2, v49
	v_add_u32_e32 v13, 0x1000, v44
	v_lshlrev_b32_e32 v15, 2, v41
	v_lshlrev_b32_e32 v39, 2, v51
	;; [unrolled: 1-line block ×5, first 2 shown]
	v_sub_u32_e32 v11, v46, v3
	ds_read2_b32 v[34:35], v13 offset0:40 offset1:152
	v_sub_u32_e32 v13, v47, v15
	v_sub_u32_e32 v25, v21, v39
	v_add_u32_e32 v32, 0x1400, v44
	v_sub_u32_e32 v54, v48, v57
	v_sub_u32_e32 v55, v23, v61
	ds_read_b32 v9, v44
	v_sub_u32_e32 v19, v45, v5
	ds_read2_b32 v[36:37], v32 offset0:8 offset1:120
	ds_read_b32 v11, v11
	ds_read_b32 v13, v13
	;; [unrolled: 1-line block ×6, first 2 shown]
	ds_read_b32 v25, v44 offset:6048
	s_and_saveexec_b64 s[4:5], s[0:1]
	s_cbranch_execz .LBB0_19
; %bb.18:
	ds_read_b32 v6, v44 offset:3136
	ds_read_b32 v7, v44 offset:6496
.LBB0_19:
	s_or_b64 exec, exec, s[4:5]
	v_sub_u32_e32 v59, 0, v15
	v_sub_f32_e32 v62, v4, v10
	v_sub_f32_e32 v68, v14, v18
	;; [unrolled: 1-line block ×3, first 2 shown]
	v_sub_u32_e32 v60, 0, v5
	v_sub_u32_e32 v19, 0, v3
	;; [unrolled: 1-line block ×5, first 2 shown]
	v_fma_f32 v61, v4, 2.0, -v62
	v_sub_f32_e32 v64, v8, v31
	v_sub_f32_e32 v66, v12, v29
	v_fma_f32 v67, v14, 2.0, -v68
	v_sub_f32_e32 v70, v16, v22
	v_sub_f32_e32 v72, v20, v26
	;; [unrolled: 1-line block ×3, first 2 shown]
	v_fma_f32 v14, v38, 2.0, -v15
	v_fma_f32 v63, v8, 2.0, -v64
	;; [unrolled: 1-line block ×6, first 2 shown]
	s_waitcnt lgkmcnt(0)
	s_barrier
	ds_write_b64 v30, v[61:62]
	ds_write_b64 v45, v[63:64]
	;; [unrolled: 1-line block ×7, first 2 shown]
	s_and_saveexec_b64 s[4:5], s[0:1]
	s_cbranch_execz .LBB0_21
; %bb.20:
	ds_write_b64 v17, v[14:15]
.LBB0_21:
	s_or_b64 exec, exec, s[4:5]
	v_add_u32_e32 v4, 0xc00, v44
	s_waitcnt lgkmcnt(0)
	s_barrier
	ds_read2_b32 v[16:17], v4 offset0:72 offset1:184
	v_add_u32_e32 v46, v46, v19
	v_add_u32_e32 v4, 0x1000, v44
	;; [unrolled: 1-line block ×3, first 2 shown]
	ds_read_b32 v24, v44
	v_add_u32_e32 v45, v45, v60
	ds_read2_b32 v[18:19], v4 offset0:40 offset1:152
	v_add_u32_e32 v47, v47, v59
	v_add_u32_e32 v4, v21, v58
	ds_read2_b32 v[20:21], v8 offset0:8 offset1:120
	v_add_u32_e32 v26, v48, v57
	v_add_u32_e32 v48, v23, v39
	ds_read_b32 v67, v46
	ds_read_b32 v65, v47
	;; [unrolled: 1-line block ×6, first 2 shown]
	ds_read_b32 v70, v44 offset:6048
	v_lshlrev_b32_e32 v29, 1, v42
	v_lshlrev_b32_e32 v30, 1, v50
	;; [unrolled: 1-line block ×7, first 2 shown]
	s_and_saveexec_b64 s[4:5], s[0:1]
	s_cbranch_execz .LBB0_23
; %bb.22:
	ds_read_b32 v14, v44 offset:3136
	ds_read_b32 v15, v44 offset:6496
.LBB0_23:
	s_or_b64 exec, exec, s[4:5]
	v_and_b32_e32 v66, 1, v42
	v_lshlrev_b32_e32 v8, 3, v66
	global_load_dwordx2 v[22:23], v8, s[8:9]
	s_movk_i32 s4, 0xfc
	s_movk_i32 s7, 0x7fc
	;; [unrolled: 1-line block ×5, first 2 shown]
	v_and_or_b32 v8, v29, s4, v66
	v_and_or_b32 v53, v39, s7, v66
	v_and_or_b32 v10, v30, s5, v66
	v_and_or_b32 v12, v31, s6, v66
	v_and_or_b32 v52, v38, s6, v66
	v_and_or_b32 v59, v40, s10, v66
	v_and_or_b32 v60, v33, s7, v66
	v_lshl_add_u32 v71, v8, 2, 0
	v_lshl_add_u32 v75, v53, 2, 0
	;; [unrolled: 1-line block ×7, first 2 shown]
	s_waitcnt vmcnt(0) lgkmcnt(0)
	s_barrier
	v_mul_f32_e32 v8, v16, v23
	v_mul_f32_e32 v53, v20, v23
	;; [unrolled: 1-line block ×8, first 2 shown]
	v_fma_f32 v8, v27, v22, -v8
	v_fma_f32 v53, v36, v22, -v53
	;; [unrolled: 1-line block ×8, first 2 shown]
	v_sub_f32_e32 v8, v9, v8
	v_sub_f32_e32 v62, v32, v53
	;; [unrolled: 1-line block ×8, first 2 shown]
	v_fma_f32 v9, v9, 2.0, -v8
	v_fma_f32 v32, v32, 2.0, -v62
	;; [unrolled: 1-line block ×8, first 2 shown]
	ds_write2_b32 v71, v9, v8 offset1:2
	ds_write2_b32 v72, v56, v10 offset1:2
	;; [unrolled: 1-line block ×7, first 2 shown]
	v_lshlrev_b32_e32 v32, 1, v43
	s_and_saveexec_b64 s[4:5], s[0:1]
	s_cbranch_execz .LBB0_25
; %bb.24:
	s_movk_i32 s6, 0x6fc
	v_and_or_b32 v6, v32, s6, v66
	v_lshl_add_u32 v6, v6, 2, 0
	ds_write2_b32 v6, v55, v53 offset1:2
.LBB0_25:
	s_or_b64 exec, exec, s[4:5]
	v_add_u32_e32 v6, 0xc00, v44
	s_waitcnt lgkmcnt(0)
	s_barrier
	ds_read2_b32 v[12:13], v6 offset0:72 offset1:184
	v_add_u32_e32 v6, 0x1000, v44
	ds_read2_b32 v[10:11], v6 offset0:40 offset1:152
	v_add_u32_e32 v6, 0x1400, v44
	ds_read_b32 v56, v44
	ds_read2_b32 v[8:9], v6 offset0:8 offset1:120
	ds_read_b32 v59, v46
	ds_read_b32 v60, v47
	;; [unrolled: 1-line block ×6, first 2 shown]
	ds_read_b32 v54, v44 offset:6048
	v_lshl_add_u32 v52, v42, 2, 0
	s_and_saveexec_b64 s[4:5], s[0:1]
	s_cbranch_execz .LBB0_27
; %bb.26:
	ds_read_b32 v55, v52 offset:3136
	ds_read_b32 v53, v44 offset:6496
.LBB0_27:
	s_or_b64 exec, exec, s[4:5]
	v_mul_f32_e32 v6, v27, v23
	v_fmac_f32_e32 v6, v16, v22
	v_mul_f32_e32 v16, v28, v23
	v_fmac_f32_e32 v16, v17, v22
	;; [unrolled: 2-line block ×5, first 2 shown]
	v_mul_f32_e32 v20, v37, v23
	v_mul_f32_e32 v7, v7, v23
	v_fmac_f32_e32 v20, v21, v22
	v_mul_f32_e32 v21, v25, v23
	v_fmac_f32_e32 v7, v15, v22
	v_fmac_f32_e32 v21, v70, v22
	v_sub_f32_e32 v6, v24, v6
	v_sub_f32_e32 v36, v14, v7
	v_fma_f32 v15, v24, 2.0, -v6
	v_sub_f32_e32 v16, v69, v16
	v_sub_f32_e32 v17, v67, v17
	;; [unrolled: 1-line block ×6, first 2 shown]
	v_fma_f32 v34, v14, 2.0, -v36
	v_fma_f32 v22, v69, 2.0, -v16
	;; [unrolled: 1-line block ×7, first 2 shown]
	s_waitcnt lgkmcnt(0)
	s_barrier
	ds_write2_b32 v71, v15, v6 offset1:2
	ds_write2_b32 v72, v22, v16 offset1:2
	;; [unrolled: 1-line block ×7, first 2 shown]
	s_and_saveexec_b64 s[4:5], s[0:1]
	s_cbranch_execz .LBB0_29
; %bb.28:
	s_movk_i32 s6, 0x6fc
	v_and_or_b32 v6, v32, s6, v66
	v_lshl_add_u32 v6, v6, 2, 0
	ds_write2_b32 v6, v34, v36 offset1:2
.LBB0_29:
	s_or_b64 exec, exec, s[4:5]
	v_add_u32_e32 v6, 0xc00, v44
	s_waitcnt lgkmcnt(0)
	s_barrier
	ds_read2_b32 v[22:23], v6 offset0:72 offset1:184
	v_add_u32_e32 v6, 0x1000, v44
	ds_read2_b32 v[20:21], v6 offset0:40 offset1:152
	v_add_u32_e32 v6, 0x1400, v44
	ds_read_b32 v57, v44
	ds_read2_b32 v[6:7], v6 offset0:8 offset1:120
	ds_read_b32 v70, v46
	ds_read_b32 v69, v47
	;; [unrolled: 1-line block ×6, first 2 shown]
	ds_read_b32 v72, v44 offset:6048
	s_and_saveexec_b64 s[4:5], s[0:1]
	s_cbranch_execz .LBB0_31
; %bb.30:
	ds_read_b32 v34, v52 offset:3136
	ds_read_b32 v36, v44 offset:6496
.LBB0_31:
	s_or_b64 exec, exec, s[4:5]
	v_and_b32_e32 v64, 3, v42
	v_lshlrev_b32_e32 v14, 3, v64
	global_load_dwordx2 v[24:25], v14, s[8:9] offset:16
	s_movk_i32 s4, 0xf8
	s_movk_i32 s7, 0x7f8
	;; [unrolled: 1-line block ×5, first 2 shown]
	v_and_or_b32 v14, v29, s4, v64
	v_and_or_b32 v27, v33, s7, v64
	;; [unrolled: 1-line block ×7, first 2 shown]
	v_lshl_add_u32 v73, v14, 2, 0
	v_lshl_add_u32 v79, v27, 2, 0
	;; [unrolled: 1-line block ×7, first 2 shown]
	s_waitcnt vmcnt(0) lgkmcnt(0)
	s_barrier
	v_mul_f32_e32 v14, v22, v25
	v_mul_f32_e32 v27, v72, v25
	;; [unrolled: 1-line block ×8, first 2 shown]
	v_fma_f32 v14, v12, v24, -v14
	v_fma_f32 v27, v54, v24, -v27
	;; [unrolled: 1-line block ×8, first 2 shown]
	v_sub_f32_e32 v14, v56, v14
	v_sub_f32_e32 v35, v63, v27
	;; [unrolled: 1-line block ×8, first 2 shown]
	v_fma_f32 v37, v56, 2.0, -v14
	v_fma_f32 v28, v55, 2.0, -v27
	;; [unrolled: 1-line block ×8, first 2 shown]
	ds_write2_b32 v73, v37, v14 offset1:4
	ds_write2_b32 v74, v56, v15 offset1:4
	;; [unrolled: 1-line block ×7, first 2 shown]
	s_and_saveexec_b64 s[4:5], s[0:1]
	s_cbranch_execz .LBB0_33
; %bb.32:
	s_movk_i32 s6, 0x6f8
	v_and_or_b32 v14, v32, s6, v64
	v_lshl_add_u32 v14, v14, 2, 0
	ds_write2_b32 v14, v28, v27 offset1:4
.LBB0_33:
	s_or_b64 exec, exec, s[4:5]
	v_add_u32_e32 v14, 0xc00, v44
	s_waitcnt lgkmcnt(0)
	s_barrier
	ds_read2_b32 v[18:19], v14 offset0:72 offset1:184
	v_add_u32_e32 v14, 0x1000, v44
	ds_read2_b32 v[16:17], v14 offset0:40 offset1:152
	v_add_u32_e32 v14, 0x1400, v44
	ds_read_b32 v37, v44
	ds_read2_b32 v[14:15], v14 offset0:8 offset1:120
	ds_read_b32 v55, v46
	ds_read_b32 v56, v47
	;; [unrolled: 1-line block ×6, first 2 shown]
	ds_read_b32 v35, v44 offset:6048
	s_and_saveexec_b64 s[4:5], s[0:1]
	s_cbranch_execz .LBB0_35
; %bb.34:
	ds_read_b32 v28, v52 offset:3136
	ds_read_b32 v27, v44 offset:6496
.LBB0_35:
	s_or_b64 exec, exec, s[4:5]
	v_mul_f32_e32 v8, v8, v25
	v_mul_f32_e32 v12, v12, v25
	;; [unrolled: 1-line block ×3, first 2 shown]
	v_fmac_f32_e32 v8, v6, v24
	v_mul_f32_e32 v6, v9, v25
	v_mul_f32_e32 v9, v53, v25
	v_fmac_f32_e32 v12, v22, v24
	v_fmac_f32_e32 v13, v23, v24
	v_mul_f32_e32 v10, v10, v25
	v_mul_f32_e32 v11, v11, v25
	v_fmac_f32_e32 v6, v7, v24
	v_mul_f32_e32 v7, v54, v25
	v_fmac_f32_e32 v9, v36, v24
	v_fmac_f32_e32 v10, v20, v24
	;; [unrolled: 1-line block ×4, first 2 shown]
	v_sub_f32_e32 v12, v57, v12
	v_sub_f32_e32 v21, v71, v13
	;; [unrolled: 1-line block ×3, first 2 shown]
	v_fma_f32 v20, v57, 2.0, -v12
	v_sub_f32_e32 v10, v70, v10
	v_sub_f32_e32 v11, v69, v11
	;; [unrolled: 1-line block ×5, first 2 shown]
	v_fma_f32 v22, v34, 2.0, -v13
	v_fma_f32 v23, v71, 2.0, -v21
	;; [unrolled: 1-line block ×7, first 2 shown]
	s_waitcnt lgkmcnt(0)
	s_barrier
	ds_write2_b32 v73, v20, v12 offset1:4
	ds_write2_b32 v74, v23, v21 offset1:4
	;; [unrolled: 1-line block ×7, first 2 shown]
	s_and_saveexec_b64 s[4:5], s[0:1]
	s_cbranch_execz .LBB0_37
; %bb.36:
	s_movk_i32 s6, 0x6f8
	v_and_or_b32 v6, v32, s6, v64
	v_lshl_add_u32 v6, v6, 2, 0
	ds_write2_b32 v6, v22, v13 offset1:4
.LBB0_37:
	s_or_b64 exec, exec, s[4:5]
	v_add_u32_e32 v6, 0xc00, v44
	s_waitcnt lgkmcnt(0)
	s_barrier
	ds_read2_b32 v[11:12], v6 offset0:72 offset1:184
	v_add_u32_e32 v6, 0x1000, v44
	ds_read2_b32 v[9:10], v6 offset0:40 offset1:152
	v_add_u32_e32 v6, 0x1400, v44
	ds_read_b32 v23, v44
	ds_read2_b32 v[7:8], v6 offset0:8 offset1:120
	ds_read_b32 v54, v46
	ds_read_b32 v53, v47
	;; [unrolled: 1-line block ×6, first 2 shown]
	ds_read_b32 v62, v44 offset:6048
	s_and_saveexec_b64 s[4:5], s[0:1]
	s_cbranch_execz .LBB0_39
; %bb.38:
	ds_read_b32 v22, v52 offset:3136
	ds_read_b32 v13, v44 offset:6496
.LBB0_39:
	s_or_b64 exec, exec, s[4:5]
	v_and_b32_e32 v25, 7, v42
	v_lshlrev_b32_e32 v6, 3, v25
	global_load_dwordx2 v[20:21], v6, s[8:9] offset:48
	s_movk_i32 s4, 0xf0
	s_movk_i32 s6, 0x3f0
	;; [unrolled: 1-line block ×4, first 2 shown]
	v_and_or_b32 v6, v29, s4, v25
	v_and_or_b32 v38, v38, s6, v25
	;; [unrolled: 1-line block ×5, first 2 shown]
	v_lshl_add_u32 v29, v6, 2, 0
	s_movk_i32 s5, 0x1f0
	v_lshl_add_u32 v33, v38, 2, 0
	v_lshl_add_u32 v38, v39, 2, 0
	;; [unrolled: 1-line block ×4, first 2 shown]
	v_and_or_b32 v30, v30, s5, v25
	v_and_or_b32 v31, v31, s6, v25
	v_lshl_add_u32 v30, v30, 2, 0
	v_lshl_add_u32 v31, v31, 2, 0
	s_waitcnt vmcnt(0) lgkmcnt(0)
	s_barrier
	v_mul_f32_e32 v6, v11, v21
	v_mul_f32_e32 v63, v12, v21
	;; [unrolled: 1-line block ×8, first 2 shown]
	v_fma_f32 v6, v18, v20, -v6
	v_fma_f32 v63, v19, v20, -v63
	v_fma_f32 v64, v16, v20, -v64
	v_fma_f32 v65, v17, v20, -v65
	v_fma_f32 v66, v14, v20, -v66
	v_fma_f32 v67, v15, v20, -v67
	v_fma_f32 v68, v35, v20, -v68
	v_fma_f32 v69, v27, v20, -v69
	v_sub_f32_e32 v70, v37, v6
	v_sub_f32_e32 v63, v61, v63
	;; [unrolled: 1-line block ×8, first 2 shown]
	v_fma_f32 v37, v37, 2.0, -v70
	v_fma_f32 v61, v61, 2.0, -v63
	;; [unrolled: 1-line block ×7, first 2 shown]
	ds_write2_b32 v29, v37, v70 offset1:8
	ds_write2_b32 v30, v61, v63 offset1:8
	;; [unrolled: 1-line block ×7, first 2 shown]
	s_and_saveexec_b64 s[4:5], s[0:1]
	s_cbranch_execz .LBB0_41
; %bb.40:
	s_movk_i32 s6, 0x6f0
	v_and_or_b32 v37, v32, s6, v25
	v_lshl_add_u32 v37, v37, 2, 0
	v_fma_f32 v28, v28, 2.0, -v6
	ds_write2_b32 v37, v28, v6 offset1:8
.LBB0_41:
	s_or_b64 exec, exec, s[4:5]
	v_mul_f32_e32 v18, v18, v21
	v_fmac_f32_e32 v18, v11, v20
	v_mul_f32_e32 v11, v19, v21
	v_fmac_f32_e32 v11, v12, v20
	;; [unrolled: 2-line block ×7, first 2 shown]
	v_mul_f32_e32 v14, v27, v21
	v_sub_f32_e32 v37, v57, v11
	v_sub_f32_e32 v60, v34, v7
	v_fmac_f32_e32 v14, v13, v20
	v_sub_f32_e32 v19, v23, v18
	v_fma_f32 v55, v57, 2.0, -v37
	v_sub_f32_e32 v57, v53, v9
	v_fma_f32 v61, v34, 2.0, -v60
	v_sub_f32_e32 v62, v24, v8
	v_add_u32_e32 v18, 0x1000, v44
	v_add_u32_e32 v20, 0xa00, v44
	v_add_u32_e32 v34, 0x1400, v44
	v_add_u32_e32 v21, 0xc00, v44
	v_fma_f32 v35, v23, 2.0, -v19
	v_sub_f32_e32 v56, v54, v12
	v_fma_f32 v58, v53, 2.0, -v57
	v_sub_f32_e32 v59, v36, v10
	;; [unrolled: 2-line block ×3, first 2 shown]
	s_waitcnt lgkmcnt(0)
	s_barrier
	ds_read_b32 v23, v44
	ds_read2_b32 v[13:14], v18 offset0:96 offset1:208
	ds_read2_b32 v[15:16], v20 offset0:32 offset1:144
	ds_read2_b32 v[9:10], v34 offset0:64 offset1:176
	ds_read_b32 v17, v46
	ds_read_b32 v7, v47
	ds_read2_b32 v[11:12], v21 offset0:128 offset1:240
	ds_read_b32 v28, v26
	ds_read_b32 v53, v4
	;; [unrolled: 1-line block ×3, first 2 shown]
	ds_read_b32 v27, v44 offset:6272
	v_fma_f32 v54, v54, 2.0, -v56
	v_fma_f32 v36, v36, 2.0, -v59
	s_waitcnt lgkmcnt(0)
	s_barrier
	ds_write2_b32 v29, v35, v19 offset1:8
	ds_write2_b32 v30, v55, v37 offset1:8
	;; [unrolled: 1-line block ×7, first 2 shown]
	s_and_saveexec_b64 s[4:5], s[0:1]
	s_cbranch_execz .LBB0_43
; %bb.42:
	s_movk_i32 s0, 0x6f0
	v_fma_f32 v19, v22, 2.0, -v8
	v_and_or_b32 v22, v32, s0, v25
	v_lshl_add_u32 v22, v22, 2, 0
	ds_write2_b32 v22, v19, v8 offset1:8
.LBB0_43:
	s_or_b64 exec, exec, s[4:5]
	v_and_b32_e32 v22, 15, v42
	v_lshlrev_b32_e32 v19, 4, v22
	s_waitcnt lgkmcnt(0)
	s_barrier
	global_load_dwordx4 v[64:67], v19, s[8:9] offset:112
	ds_read_b32 v19, v44
	ds_read2_b32 v[29:30], v18 offset0:96 offset1:208
	ds_read2_b32 v[54:55], v20 offset0:32 offset1:144
	;; [unrolled: 1-line block ×3, first 2 shown]
	ds_read_b32 v20, v46
	ds_read_b32 v18, v47
	;; [unrolled: 1-line block ×3, first 2 shown]
	ds_read2_b32 v[25:26], v21 offset0:128 offset1:240
	ds_read_b32 v4, v4
	ds_read_b32 v21, v45
	ds_read_b32 v70, v44 offset:6272
	s_waitcnt vmcnt(0) lgkmcnt(0)
	s_barrier
	v_cmp_gt_u32_e64 s[0:1], 16, v42
	v_mul_f32_e32 v59, v54, v65
	v_mul_f32_e32 v61, v30, v67
	;; [unrolled: 1-line block ×6, first 2 shown]
	v_fma_f32 v60, v15, v64, -v59
	v_fma_f32 v61, v14, v66, -v61
	v_mul_f32_e32 v32, v28, v65
	v_mul_f32_e32 v33, v15, v65
	;; [unrolled: 1-line block ×10, first 2 shown]
	v_fma_f32 v62, v28, v64, -v57
	v_fma_f32 v63, v13, v66, -v58
	;; [unrolled: 1-line block ×4, first 2 shown]
	v_add_f32_e32 v16, v60, v61
	v_mul_f32_e32 v37, v13, v67
	v_mul_f32_e32 v40, v10, v67
	;; [unrolled: 1-line block ×3, first 2 shown]
	v_fmac_f32_e32 v33, v54, v64
	v_fmac_f32_e32 v38, v30, v66
	v_fma_f32 v11, v11, v64, -v73
	v_fma_f32 v57, v10, v66, -v74
	v_fma_f32 v10, v27, v66, -v65
	v_add_f32_e32 v13, v62, v63
	v_add_f32_e32 v15, v24, v60
	;; [unrolled: 1-line block ×3, first 2 shown]
	v_fmac_f32_e32 v24, -0.5, v16
	v_mul_f32_e32 v39, v9, v67
	v_fmac_f32_e32 v32, v31, v64
	v_fmac_f32_e32 v37, v29, v66
	;; [unrolled: 1-line block ×3, first 2 shown]
	v_fma_f32 v9, v12, v64, -v75
	v_fmac_f32_e32 v36, v26, v64
	v_add_f32_e32 v12, v23, v62
	v_sub_f32_e32 v25, v33, v38
	v_add_f32_e32 v26, v17, v58
	v_add_f32_e32 v30, v11, v57
	v_fmac_f32_e32 v23, -0.5, v13
	v_fmac_f32_e32 v17, -0.5, v27
	v_mov_b32_e32 v27, v24
	v_fmac_f32_e32 v34, v55, v64
	v_fmac_f32_e32 v39, v68, v66
	;; [unrolled: 1-line block ×3, first 2 shown]
	v_sub_f32_e32 v14, v32, v37
	v_add_f32_e32 v29, v7, v11
	v_add_f32_e32 v13, v15, v61
	;; [unrolled: 1-line block ×3, first 2 shown]
	v_fmac_f32_e32 v7, -0.5, v30
	v_mov_b32_e32 v26, v23
	v_fmac_f32_e32 v24, 0xbf5db3d7, v25
	v_fmac_f32_e32 v27, 0x3f5db3d7, v25
	v_add_f32_e32 v25, v9, v10
	v_fmac_f32_e32 v56, v70, v66
	v_sub_f32_e32 v28, v34, v39
	v_sub_f32_e32 v31, v35, v40
	v_add_f32_e32 v16, v29, v57
	v_fmac_f32_e32 v23, 0xbf5db3d7, v14
	v_mov_b32_e32 v29, v17
	v_mov_b32_e32 v30, v7
	v_fmac_f32_e32 v26, 0x3f5db3d7, v14
	v_add_f32_e32 v14, v53, v9
	v_fmac_f32_e32 v53, -0.5, v25
	v_fmac_f32_e32 v17, 0xbf5db3d7, v28
	v_fmac_f32_e32 v29, 0x3f5db3d7, v28
	;; [unrolled: 1-line block ×4, first 2 shown]
	v_sub_f32_e32 v25, v36, v56
	v_mov_b32_e32 v28, v53
	v_lshrrev_b32_e32 v31, 4, v50
	v_fmac_f32_e32 v28, 0x3f5db3d7, v25
	v_fmac_f32_e32 v53, 0xbf5db3d7, v25
	v_lshrrev_b32_e32 v25, 4, v42
	v_mul_lo_u32 v31, v31, 48
	v_mul_u32_u24_e32 v25, 48, v25
	v_or_b32_e32 v25, v25, v22
	v_add_f32_e32 v12, v12, v63
	v_lshl_add_u32 v64, v25, 2, 0
	ds_write2_b32 v64, v12, v26 offset1:16
	ds_write_b32 v64, v23 offset:128
	v_or_b32_e32 v12, v31, v22
	v_lshrrev_b32_e32 v23, 4, v49
	v_lshl_add_u32 v65, v12, 2, 0
	v_mul_lo_u32 v23, v23, 48
	ds_write2_b32 v65, v13, v27 offset1:16
	ds_write_b32 v65, v24 offset:128
	v_lshrrev_b32_e32 v13, 4, v41
	v_mul_lo_u32 v13, v13, 48
	v_or_b32_e32 v12, v23, v22
	v_lshl_add_u32 v41, v12, 2, 0
	ds_write2_b32 v41, v15, v29 offset1:16
	ds_write_b32 v41, v17 offset:128
	v_or_b32_e32 v12, v13, v22
	v_lshrrev_b32_e32 v13, 4, v51
	v_mul_lo_u32 v13, v13, 48
	v_lshl_add_u32 v51, v12, 2, 0
	ds_write2_b32 v51, v16, v30 offset1:16
	ds_write_b32 v51, v7 offset:128
	v_add_f32_e32 v14, v14, v10
	v_or_b32_e32 v7, v13, v22
	v_lshl_add_u32 v67, v7, 2, 0
	v_add_u32_e32 v66, 0x80, v44
	v_add_u32_e32 v68, 64, v44
	;; [unrolled: 1-line block ×3, first 2 shown]
	ds_write2_b32 v67, v14, v28 offset1:16
	ds_write_b32 v67, v53 offset:128
	s_waitcnt lgkmcnt(0)
	s_barrier
	ds_read2_b32 v[12:13], v44 offset1:240
	ds_read2st64_b32 v[30:31], v66 offset0:5 offset1:7
	ds_read2st64_b32 v[28:29], v68 offset0:9 offset1:11
	;; [unrolled: 1-line block ×5, first 2 shown]
	ds_read_b32 v54, v45
	ds_read_b32 v55, v44 offset:6208
                                        ; implicit-def: $vgpr17
                                        ; implicit-def: $vgpr15
	s_and_saveexec_b64 s[4:5], s[0:1]
	s_cbranch_execz .LBB0_45
; %bb.44:
	v_add_u32_e32 v14, 0xec0, v52
	v_add_u32_e32 v6, 0x740, v52
	ds_read2_b32 v[16:17], v14 offset1:240
	v_add_u32_e32 v14, 0x1640, v52
	ds_read_b32 v53, v46
	ds_read2_b32 v[6:7], v6 offset1:240
	ds_read2_b32 v[14:15], v14 offset1:240
.LBB0_45:
	s_or_b64 exec, exec, s[4:5]
	v_add_f32_e32 v70, v19, v32
	v_add_f32_e32 v32, v32, v37
	v_fmac_f32_e32 v19, -0.5, v32
	v_add_f32_e32 v70, v70, v37
	v_sub_f32_e32 v32, v62, v63
	v_mov_b32_e32 v37, v19
	v_fmac_f32_e32 v37, 0xbf5db3d7, v32
	v_fmac_f32_e32 v19, 0x3f5db3d7, v32
	v_add_f32_e32 v32, v21, v33
	v_add_f32_e32 v33, v33, v38
	v_fmac_f32_e32 v21, -0.5, v33
	v_add_f32_e32 v32, v32, v38
	v_sub_f32_e32 v33, v60, v61
	v_mov_b32_e32 v38, v21
	v_fmac_f32_e32 v38, 0xbf5db3d7, v33
	v_fmac_f32_e32 v21, 0x3f5db3d7, v33
	;; [unrolled: 8-line block ×3, first 2 shown]
	v_add_f32_e32 v34, v18, v35
	v_add_f32_e32 v35, v35, v40
	v_fmac_f32_e32 v18, -0.5, v35
	v_sub_f32_e32 v11, v11, v57
	v_mov_b32_e32 v35, v18
	v_fmac_f32_e32 v35, 0xbf5db3d7, v11
	v_fmac_f32_e32 v18, 0x3f5db3d7, v11
	v_add_f32_e32 v11, v4, v36
	v_add_f32_e32 v36, v36, v56
	v_fmac_f32_e32 v4, -0.5, v36
	v_sub_f32_e32 v9, v9, v10
	v_mov_b32_e32 v10, v4
	v_add_f32_e32 v34, v34, v40
	v_add_f32_e32 v11, v11, v56
	v_fmac_f32_e32 v10, 0xbf5db3d7, v9
	v_fmac_f32_e32 v4, 0x3f5db3d7, v9
	s_waitcnt lgkmcnt(0)
	s_barrier
	ds_write2_b32 v64, v70, v37 offset1:16
	ds_write_b32 v64, v19 offset:128
	ds_write2_b32 v65, v32, v38 offset1:16
	ds_write_b32 v65, v21 offset:128
	;; [unrolled: 2-line block ×5, first 2 shown]
	s_waitcnt lgkmcnt(0)
	s_barrier
	ds_read2_b32 v[10:11], v44 offset1:240
	ds_read2st64_b32 v[40:41], v66 offset0:5 offset1:7
	ds_read2st64_b32 v[38:39], v68 offset0:9 offset1:11
	;; [unrolled: 1-line block ×5, first 2 shown]
	ds_read_b32 v51, v45
	ds_read_b32 v56, v44 offset:6208
                                        ; implicit-def: $vgpr21
                                        ; implicit-def: $vgpr19
	s_and_saveexec_b64 s[4:5], s[0:1]
	s_cbranch_execz .LBB0_47
; %bb.46:
	v_add_u32_e32 v18, 0xec0, v52
	v_add_u32_e32 v8, 0x740, v52
	ds_read2_b32 v[20:21], v18 offset1:240
	v_add_u32_e32 v18, 0x1640, v52
	ds_read_b32 v4, v46
	ds_read2_b32 v[8:9], v8 offset1:240
	ds_read2_b32 v[18:19], v18 offset1:240
.LBB0_47:
	s_or_b64 exec, exec, s[4:5]
	s_movk_i32 s4, 0xab
	v_mul_lo_u16_sdwa v52, v42, s4 dst_sel:DWORD dst_unused:UNUSED_PAD src0_sel:BYTE_0 src1_sel:DWORD
	v_lshrrev_b16_e32 v69, 13, v52
	v_mul_lo_u16_e32 v52, 48, v69
	v_sub_u16_e32 v70, v42, v52
	v_mov_b32_e32 v71, 6
	v_mul_u32_u24_sdwa v52, v70, v71 dst_sel:DWORD dst_unused:UNUSED_PAD src0_sel:BYTE_0 src1_sel:DWORD
	v_lshlrev_b32_e32 v52, 3, v52
	global_load_dwordx4 v[57:60], v52, s[8:9] offset:400
	global_load_dwordx4 v[61:64], v52, s[8:9] offset:384
	;; [unrolled: 1-line block ×3, first 2 shown]
	s_mov_b32 s6, 0x3f5ff5aa
	s_mov_b32 s7, 0x3f3bfb3b
	;; [unrolled: 1-line block ×4, first 2 shown]
	s_waitcnt vmcnt(0) lgkmcnt(7)
	v_mul_f32_e32 v52, v11, v66
	v_fma_f32 v52, v13, v65, -v52
	v_mul_f32_e32 v13, v13, v66
	v_fmac_f32_e32 v13, v11, v65
	s_waitcnt lgkmcnt(6)
	v_mul_f32_e32 v11, v41, v68
	v_fma_f32 v11, v31, v67, -v11
	v_mul_f32_e32 v31, v31, v68
	v_fmac_f32_e32 v31, v41, v67
	s_waitcnt lgkmcnt(5)
	;; [unrolled: 5-line block ×5, first 2 shown]
	v_mul_f32_e32 v35, v33, v60
	v_fma_f32 v35, v23, v59, -v35
	v_mul_f32_e32 v23, v23, v60
	v_fmac_f32_e32 v23, v33, v59
	v_mul_lo_u16_sdwa v33, v50, s4 dst_sel:DWORD dst_unused:UNUSED_PAD src0_sel:BYTE_0 src1_sel:DWORD
	v_lshrrev_b16_e32 v72, 13, v33
	v_mul_lo_u16_e32 v33, 48, v72
	v_sub_u16_e32 v73, v50, v33
	v_mul_u32_u24_sdwa v33, v73, v71 dst_sel:DWORD dst_unused:UNUSED_PAD src0_sel:BYTE_0 src1_sel:DWORD
	v_lshlrev_b32_e32 v33, 3, v33
	global_load_dwordx4 v[57:60], v33, s[8:9] offset:400
	global_load_dwordx4 v[61:64], v33, s[8:9] offset:384
	;; [unrolled: 1-line block ×3, first 2 shown]
	s_mov_b32 s4, 0xaaab
	s_waitcnt vmcnt(2)
	v_mul_f32_e32 v50, v55, v60
	s_waitcnt lgkmcnt(0)
	v_fmac_f32_e32 v50, v56, v59
	s_waitcnt vmcnt(0)
	v_mul_f32_e32 v33, v40, v66
	v_fma_f32 v33, v30, v65, -v33
	v_mul_f32_e32 v30, v30, v66
	v_fmac_f32_e32 v30, v40, v65
	v_mul_f32_e32 v40, v38, v68
	v_fma_f32 v40, v28, v67, -v40
	v_mul_f32_e32 v28, v28, v68
	v_fmac_f32_e32 v28, v38, v67
	;; [unrolled: 4-line block ×5, first 2 shown]
	v_mul_f32_e32 v32, v56, v60
	v_fma_f32 v32, v55, v59, -v32
	v_mul_u32_u24_sdwa v55, v49, s4 dst_sel:DWORD dst_unused:UNUSED_PAD src0_sel:WORD_0 src1_sel:DWORD
	v_lshrrev_b32_e32 v55, 21, v55
	v_mul_lo_u16_e32 v55, 48, v55
	v_sub_u16_e32 v67, v49, v55
	v_mul_u32_u24_e32 v49, 6, v67
	v_lshlrev_b32_e32 v49, 3, v49
	global_load_dwordx4 v[63:66], v49, s[8:9] offset:400
	global_load_dwordx4 v[59:62], v49, s[8:9] offset:384
	;; [unrolled: 1-line block ×3, first 2 shown]
	s_waitcnt vmcnt(0)
	s_barrier
	v_mul_f32_e32 v49, v8, v56
	v_fma_f32 v49, v6, v55, -v49
	v_mul_f32_e32 v6, v6, v56
	v_fmac_f32_e32 v6, v8, v55
	v_mul_f32_e32 v8, v9, v58
	v_fma_f32 v55, v7, v57, -v8
	v_mul_f32_e32 v56, v7, v58
	v_mul_f32_e32 v7, v20, v60
	v_fmac_f32_e32 v56, v9, v57
	v_fma_f32 v57, v16, v59, -v7
	v_mul_f32_e32 v58, v16, v60
	v_mul_f32_e32 v7, v21, v62
	v_fmac_f32_e32 v58, v20, v59
	;; [unrolled: 4-line block ×4, first 2 shown]
	v_fma_f32 v63, v15, v65, -v7
	v_add_f32_e32 v7, v52, v35
	v_add_f32_e32 v9, v11, v37
	v_mul_f32_e32 v64, v15, v66
	v_add_f32_e32 v15, v41, v39
	v_add_f32_e32 v17, v9, v7
	v_sub_f32_e32 v14, v31, v25
	v_sub_f32_e32 v16, v27, v29
	;; [unrolled: 1-line block ×5, first 2 shown]
	v_add_f32_e32 v15, v15, v17
	v_fmac_f32_e32 v64, v19, v65
	v_sub_f32_e32 v8, v13, v23
	v_add_f32_e32 v19, v16, v14
	v_sub_f32_e32 v20, v16, v14
	v_add_f32_e32 v12, v12, v15
	v_sub_f32_e32 v16, v8, v16
	v_sub_f32_e32 v14, v14, v8
	v_add_f32_e32 v8, v19, v8
	v_mul_f32_e32 v7, 0x3f4a47b2, v7
	v_mul_f32_e32 v17, 0x3d64c772, v9
	;; [unrolled: 1-line block ×3, first 2 shown]
	v_mov_b32_e32 v21, v12
	v_mul_f32_e32 v20, 0x3f5ff5aa, v14
	v_fmac_f32_e32 v21, 0xbf955555, v15
	v_fma_f32 v15, v18, s7, -v17
	v_fma_f32 v17, v18, s10, -v7
	v_fmac_f32_e32 v7, 0x3d64c772, v9
	v_fma_f32 v9, v14, s6, -v19
	v_fmac_f32_e32 v19, 0x3eae86e6, v16
	v_fma_f32 v14, v16, s11, -v20
	v_add_f32_e32 v7, v7, v21
	v_add_f32_e32 v15, v15, v21
	v_fmac_f32_e32 v19, 0x3ee1c552, v8
	v_fmac_f32_e32 v9, 0x3ee1c552, v8
	;; [unrolled: 1-line block ×3, first 2 shown]
	v_add_f32_e32 v8, v19, v7
	v_sub_f32_e32 v18, v15, v9
	v_add_f32_e32 v9, v9, v15
	v_sub_f32_e32 v7, v7, v19
	v_add_f32_e32 v15, v33, v32
	v_add_f32_e32 v19, v40, v34
	;; [unrolled: 1-line block ×6, first 2 shown]
	v_sub_f32_e32 v14, v16, v14
	v_sub_f32_e32 v16, v30, v50
	v_sub_f32_e32 v20, v28, v22
	v_sub_f32_e32 v65, v24, v26
	v_sub_f32_e32 v68, v19, v15
	v_sub_f32_e32 v15, v15, v21
	v_sub_f32_e32 v19, v21, v19
	v_add_f32_e32 v21, v21, v66
	v_add_f32_e32 v71, v65, v20
	v_sub_f32_e32 v74, v65, v20
	v_sub_f32_e32 v20, v20, v16
	v_add_f32_e32 v54, v54, v21
	v_sub_f32_e32 v65, v16, v65
	v_add_f32_e32 v16, v71, v16
	v_mul_f32_e32 v15, 0x3f4a47b2, v15
	v_mul_f32_e32 v66, 0x3d64c772, v19
	;; [unrolled: 1-line block ×4, first 2 shown]
	v_mov_b32_e32 v75, v54
	v_fmac_f32_e32 v75, 0xbf955555, v21
	v_fma_f32 v21, v68, s7, -v66
	v_fma_f32 v66, v68, s10, -v15
	v_fmac_f32_e32 v15, 0x3d64c772, v19
	v_fma_f32 v19, v20, s6, -v71
	v_fma_f32 v20, v65, s11, -v74
	v_fmac_f32_e32 v71, 0x3eae86e6, v65
	v_add_f32_e32 v21, v21, v75
	v_add_f32_e32 v65, v66, v75
	v_fmac_f32_e32 v19, 0x3ee1c552, v16
	v_fmac_f32_e32 v20, 0x3ee1c552, v16
	v_mov_b32_e32 v66, 2
	v_add_f32_e32 v68, v20, v65
	v_sub_f32_e32 v74, v21, v19
	v_add_f32_e32 v19, v19, v21
	v_sub_f32_e32 v20, v65, v20
	v_mul_u32_u24_e32 v21, 0x540, v69
	v_lshlrev_b32_sdwa v65, v66, v70 dst_sel:DWORD dst_unused:UNUSED_PAD src0_sel:DWORD src1_sel:BYTE_0
	v_add3_u32 v65, 0, v21, v65
	v_add_f32_e32 v15, v15, v75
	v_fmac_f32_e32 v71, 0x3ee1c552, v16
	ds_write2_b32 v65, v12, v8 offset1:48
	ds_write2_b32 v65, v17, v18 offset0:96 offset1:144
	ds_write2_b32 v65, v9, v14 offset0:192 offset1:240
	ds_write_b32 v65, v7 offset:1152
	v_mul_u32_u24_e32 v7, 0x540, v72
	v_lshlrev_b32_sdwa v8, v66, v73 dst_sel:DWORD dst_unused:UNUSED_PAD src0_sel:DWORD src1_sel:BYTE_0
	v_add_f32_e32 v16, v71, v15
	v_add3_u32 v66, 0, v7, v8
	v_sub_f32_e32 v15, v15, v71
	ds_write2_b32 v66, v54, v16 offset1:48
	ds_write2_b32 v66, v68, v74 offset0:96 offset1:144
	ds_write2_b32 v66, v19, v20 offset0:192 offset1:240
	ds_write_b32 v66, v15 offset:1152
	v_lshl_add_u32 v54, v67, 2, 0
	s_and_saveexec_b64 s[4:5], s[0:1]
	s_cbranch_execz .LBB0_49
; %bb.48:
	v_add_f32_e32 v7, v49, v63
	v_add_f32_e32 v8, v57, v59
	v_sub_f32_e32 v9, v7, v8
	v_mul_f32_e32 v9, 0x3f4a47b2, v9
	v_add_f32_e32 v12, v55, v61
	v_sub_f32_e32 v14, v8, v12
	v_mov_b32_e32 v16, v9
	v_mul_f32_e32 v15, 0x3d64c772, v14
	v_fmac_f32_e32 v16, 0x3d64c772, v14
	v_add_f32_e32 v14, v12, v7
	v_add_f32_e32 v8, v8, v14
	;; [unrolled: 1-line block ×3, first 2 shown]
	v_mov_b32_e32 v17, v14
	v_sub_f32_e32 v18, v60, v58
	v_sub_f32_e32 v20, v56, v62
	v_fmac_f32_e32 v17, 0xbf955555, v8
	v_sub_f32_e32 v21, v18, v20
	v_add_f32_e32 v8, v16, v17
	v_sub_f32_e32 v16, v6, v64
	v_mul_f32_e32 v21, 0xbf08b237, v21
	v_sub_f32_e32 v19, v16, v18
	v_mov_b32_e32 v53, v21
	v_add_f32_e32 v18, v18, v20
	v_sub_f32_e32 v7, v12, v7
	v_sub_f32_e32 v12, v20, v16
	v_fmac_f32_e32 v53, 0x3eae86e6, v19
	v_add_f32_e32 v18, v18, v16
	v_fma_f32 v9, v7, s10, -v9
	v_mul_f32_e32 v16, 0x3f5ff5aa, v12
	v_fma_f32 v12, v12, s6, -v21
	v_fma_f32 v7, v7, s7, -v15
	v_fmac_f32_e32 v53, 0x3ee1c552, v18
	v_fma_f32 v16, v19, s11, -v16
	v_fmac_f32_e32 v12, 0x3ee1c552, v18
	v_add_f32_e32 v7, v7, v17
	v_sub_f32_e32 v67, v8, v53
	v_add_f32_e32 v9, v9, v17
	v_fmac_f32_e32 v16, 0x3ee1c552, v18
	v_add_f32_e32 v15, v12, v7
	v_sub_f32_e32 v7, v7, v12
	v_add_f32_e32 v8, v53, v8
	v_add_u32_e32 v12, 0x1400, v54
	v_sub_f32_e32 v19, v9, v16
	v_add_f32_e32 v9, v16, v9
	ds_write2_b32 v12, v14, v8 offset0:64 offset1:112
	ds_write2_b32 v12, v9, v7 offset0:160 offset1:208
	v_add_u32_e32 v7, 0x1800, v54
	ds_write2_b32 v7, v15, v19 offset1:48
	ds_write_b32 v54, v67 offset:6528
.LBB0_49:
	s_or_b64 exec, exec, s[4:5]
	v_add_f32_e32 v7, v13, v23
	v_add_f32_e32 v9, v31, v25
	;; [unrolled: 1-line block ×4, first 2 shown]
	v_sub_f32_e32 v11, v11, v37
	v_sub_f32_e32 v13, v39, v41
	;; [unrolled: 1-line block ×5, first 2 shown]
	v_add_f32_e32 v12, v12, v14
	v_sub_f32_e32 v8, v52, v35
	v_sub_f32_e32 v17, v13, v11
	v_add_f32_e32 v23, v10, v12
	v_add_f32_e32 v16, v13, v11
	v_sub_f32_e32 v13, v8, v13
	v_sub_f32_e32 v11, v11, v8
	v_mul_f32_e32 v7, 0x3f4a47b2, v7
	v_mul_f32_e32 v10, 0x3d64c772, v9
	;; [unrolled: 1-line block ×3, first 2 shown]
	v_mov_b32_e32 v17, v23
	v_add_f32_e32 v8, v16, v8
	v_mul_f32_e32 v16, 0x3f5ff5aa, v11
	v_fmac_f32_e32 v17, 0xbf955555, v12
	v_fma_f32 v10, v15, s7, -v10
	v_fma_f32 v12, v15, s10, -v7
	v_fmac_f32_e32 v7, 0x3d64c772, v9
	v_fma_f32 v9, v11, s6, -v14
	v_fmac_f32_e32 v14, 0x3eae86e6, v13
	v_fma_f32 v11, v13, s11, -v16
	v_add_f32_e32 v7, v7, v17
	v_add_f32_e32 v10, v10, v17
	v_fmac_f32_e32 v14, 0x3ee1c552, v8
	v_fmac_f32_e32 v9, 0x3ee1c552, v8
	v_add_f32_e32 v12, v12, v17
	v_fmac_f32_e32 v11, 0x3ee1c552, v8
	v_sub_f32_e32 v25, v7, v14
	v_add_f32_e32 v29, v9, v10
	v_sub_f32_e32 v31, v10, v9
	v_add_f32_e32 v37, v14, v7
	v_add_f32_e32 v7, v30, v50
	;; [unrolled: 1-line block ×3, first 2 shown]
	v_sub_f32_e32 v27, v12, v11
	v_add_f32_e32 v35, v11, v12
	v_add_f32_e32 v11, v26, v24
	;; [unrolled: 1-line block ×3, first 2 shown]
	v_sub_f32_e32 v10, v40, v34
	v_sub_f32_e32 v12, v36, v38
	;; [unrolled: 1-line block ×5, first 2 shown]
	v_add_f32_e32 v11, v11, v13
	v_sub_f32_e32 v8, v33, v32
	v_add_f32_e32 v15, v12, v10
	v_sub_f32_e32 v16, v12, v10
	;; [unrolled: 2-line block ×3, first 2 shown]
	v_sub_f32_e32 v10, v10, v8
	v_add_f32_e32 v8, v15, v8
	v_mul_f32_e32 v7, 0x3f4a47b2, v7
	v_mul_f32_e32 v13, 0x3d64c772, v9
	;; [unrolled: 1-line block ×3, first 2 shown]
	v_mov_b32_e32 v17, v22
	v_mul_f32_e32 v16, 0x3f5ff5aa, v10
	v_fmac_f32_e32 v17, 0xbf955555, v11
	v_fma_f32 v11, v14, s7, -v13
	v_fma_f32 v13, v14, s10, -v7
	v_fmac_f32_e32 v7, 0x3d64c772, v9
	v_fma_f32 v9, v10, s6, -v15
	v_fmac_f32_e32 v15, 0x3eae86e6, v12
	v_fma_f32 v10, v12, s11, -v16
	v_add_f32_e32 v11, v11, v17
	v_fmac_f32_e32 v9, 0x3ee1c552, v8
	v_add_f32_e32 v7, v7, v17
	v_add_f32_e32 v12, v13, v17
	v_fmac_f32_e32 v15, 0x3ee1c552, v8
	v_fmac_f32_e32 v10, 0x3ee1c552, v8
	v_add_f32_e32 v28, v9, v11
	v_sub_f32_e32 v30, v11, v9
	v_add_u32_e32 v9, 0xc00, v44
	v_sub_f32_e32 v24, v7, v15
	v_sub_f32_e32 v26, v12, v10
	v_add_f32_e32 v32, v10, v12
	v_add_f32_e32 v33, v15, v7
	s_waitcnt lgkmcnt(0)
	s_barrier
	ds_read2st64_b32 v[7:8], v44 offset1:7
	ds_read_b32 v17, v48
	ds_read2_b32 v[11:12], v9 offset0:128 offset1:240
	v_add_u32_e32 v9, 0x1400, v44
	v_add_u32_e32 v13, 0x880, v44
	;; [unrolled: 1-line block ×3, first 2 shown]
	ds_read2_b32 v[9:10], v9 offset0:64 offset1:176
	ds_read2_b32 v[13:14], v13 offset0:16 offset1:240
	ds_read2_b32 v[15:16], v15 offset0:96 offset1:208
	ds_read_b32 v18, v47
	ds_read_b32 v20, v46
	;; [unrolled: 1-line block ×3, first 2 shown]
	ds_read_b32 v21, v44 offset:6272
	s_waitcnt lgkmcnt(0)
	s_barrier
	ds_write2_b32 v65, v23, v25 offset1:48
	ds_write2_b32 v65, v27, v29 offset0:96 offset1:144
	ds_write2_b32 v65, v31, v35 offset0:192 offset1:240
	ds_write_b32 v65, v37 offset:1152
	ds_write2_b32 v66, v22, v24 offset1:48
	ds_write2_b32 v66, v26, v28 offset0:96 offset1:144
	ds_write2_b32 v66, v30, v32 offset0:192 offset1:240
	ds_write_b32 v66, v33 offset:1152
	s_and_saveexec_b64 s[4:5], s[0:1]
	s_cbranch_execz .LBB0_51
; %bb.50:
	v_add_f32_e32 v6, v6, v64
	v_add_f32_e32 v23, v56, v62
	;; [unrolled: 1-line block ×4, first 2 shown]
	v_sub_f32_e32 v28, v23, v6
	v_sub_f32_e32 v6, v6, v25
	;; [unrolled: 1-line block ×3, first 2 shown]
	v_add_f32_e32 v25, v25, v27
	v_sub_f32_e32 v24, v55, v61
	v_sub_f32_e32 v26, v59, v57
	v_add_f32_e32 v4, v4, v25
	v_sub_f32_e32 v22, v49, v63
	v_add_f32_e32 v29, v26, v24
	v_sub_f32_e32 v30, v26, v24
	v_mul_f32_e32 v27, 0x3d64c772, v23
	v_mov_b32_e32 v31, v4
	s_mov_b32 s1, 0x3f3bfb3b
	v_sub_f32_e32 v26, v22, v26
	v_sub_f32_e32 v24, v24, v22
	v_add_f32_e32 v22, v29, v22
	v_mul_f32_e32 v6, 0x3f4a47b2, v6
	v_mul_f32_e32 v29, 0xbf08b237, v30
	s_mov_b32 s0, 0x3f5ff5aa
	v_fmac_f32_e32 v31, 0xbf955555, v25
	v_fma_f32 v25, v28, s1, -v27
	s_mov_b32 s1, 0xbf3bfb3b
	v_mul_f32_e32 v30, 0x3f5ff5aa, v24
	v_fma_f32 v27, v28, s1, -v6
	v_fmac_f32_e32 v6, 0x3d64c772, v23
	v_fma_f32 v23, v24, s0, -v29
	v_fmac_f32_e32 v29, 0x3eae86e6, v26
	s_mov_b32 s0, 0xbeae86e6
	v_fma_f32 v24, v26, s0, -v30
	v_add_f32_e32 v6, v6, v31
	v_add_f32_e32 v25, v25, v31
	v_fmac_f32_e32 v29, 0x3ee1c552, v22
	v_fmac_f32_e32 v23, 0x3ee1c552, v22
	v_add_f32_e32 v26, v27, v31
	v_fmac_f32_e32 v24, 0x3ee1c552, v22
	v_sub_f32_e32 v22, v6, v29
	v_add_f32_e32 v28, v23, v25
	v_sub_f32_e32 v23, v25, v23
	v_add_u32_e32 v25, 0x1400, v54
	v_sub_f32_e32 v27, v26, v24
	v_add_f32_e32 v24, v24, v26
	ds_write2_b32 v25, v4, v22 offset0:64 offset1:112
	ds_write2_b32 v25, v27, v28 offset0:160 offset1:208
	v_add_u32_e32 v4, 0x1800, v54
	v_add_f32_e32 v6, v29, v6
	ds_write2_b32 v4, v23, v24 offset1:48
	ds_write_b32 v54, v6 offset:6528
.LBB0_51:
	s_or_b64 exec, exec, s[4:5]
	s_waitcnt lgkmcnt(0)
	s_barrier
	s_and_saveexec_b64 s[0:1], vcc
	s_cbranch_execz .LBB0_53
; %bb.52:
	v_mov_b32_e32 v4, 0
	v_lshlrev_b64 v[22:23], 3, v[3:4]
	v_mov_b32_e32 v53, s9
	v_add_co_u32_e32 v30, vcc, s8, v22
	v_addc_co_u32_e32 v31, vcc, v53, v23, vcc
	global_load_dwordx4 v[22:25], v[30:31], off offset:2672
	global_load_dwordx4 v[26:29], v[30:31], off offset:2688
	v_add_u32_e32 v6, 0xc00, v44
	v_add_u32_e32 v3, 0x880, v44
	ds_read_b32 v49, v44 offset:6272
	v_add_u32_e32 v30, 0x1000, v44
	ds_read_b32 v54, v47
	ds_read_b32 v55, v48
	ds_read_b32 v47, v46
	ds_read_b32 v56, v45
	ds_read2_b32 v[38:39], v3 offset0:16 offset1:240
	ds_read2_b32 v[40:41], v6 offset0:128 offset1:240
	ds_read2_b32 v[45:46], v30 offset0:96 offset1:208
	v_mov_b32_e32 v6, v4
	v_lshlrev_b64 v[5:6], 3, v[5:6]
	s_movk_i32 s4, 0x540
	v_add_co_u32_e32 v5, vcc, s8, v5
	v_addc_co_u32_e32 v6, vcc, v53, v6, vcc
	global_load_dwordx4 v[30:33], v[5:6], off offset:2688
	global_load_dwordx4 v[34:37], v[5:6], off offset:2672
	s_waitcnt vmcnt(3) lgkmcnt(2)
	v_mul_f32_e32 v3, v22, v38
	s_waitcnt lgkmcnt(1)
	v_mul_f32_e32 v5, v24, v40
	s_waitcnt vmcnt(2)
	v_mul_f32_e32 v6, v28, v49
	v_mul_f32_e32 v38, v23, v38
	v_mul_f32_e32 v49, v29, v49
	v_fmac_f32_e32 v3, v13, v23
	v_fmac_f32_e32 v5, v11, v25
	;; [unrolled: 1-line block ×3, first 2 shown]
	s_waitcnt lgkmcnt(0)
	v_mul_f32_e32 v48, v26, v46
	v_mul_f32_e32 v40, v25, v40
	;; [unrolled: 1-line block ×3, first 2 shown]
	v_fma_f32 v13, v13, v22, -v38
	v_fma_f32 v21, v21, v28, -v49
	v_sub_f32_e32 v22, v3, v5
	v_sub_f32_e32 v50, v3, v6
	;; [unrolled: 1-line block ×3, first 2 shown]
	v_add_f32_e32 v49, v3, v6
	v_add_f32_e32 v3, v3, v47
	v_fmac_f32_e32 v48, v16, v27
	v_fma_f32 v11, v11, v24, -v40
	v_fma_f32 v16, v16, v26, -v46
	v_add_f32_e32 v3, v5, v3
	v_sub_f32_e32 v23, v6, v48
	v_sub_f32_e32 v26, v13, v11
	;; [unrolled: 1-line block ×3, first 2 shown]
	v_add_f32_e32 v3, v48, v3
	v_add_f32_e32 v22, v22, v23
	;; [unrolled: 1-line block ×3, first 2 shown]
	v_fma_f32 v27, -0.5, v49, v47
	v_add_f32_e32 v49, v6, v3
	v_add_f32_e32 v3, v20, v13
	;; [unrolled: 1-line block ×6, first 2 shown]
	v_sub_f32_e32 v51, v5, v48
	v_sub_f32_e32 v46, v48, v6
	v_add_f32_e32 v48, v21, v3
	v_mov_b32_e32 v3, v4
	v_add_f32_e32 v58, v13, v21
	v_fma_f32 v25, -0.5, v24, v47
	v_fma_f32 v24, -0.5, v28, v20
	v_lshlrev_b64 v[2:3], 3, v[2:3]
	v_sub_f32_e32 v40, v13, v21
	v_sub_f32_e32 v52, v11, v13
	;; [unrolled: 1-line block ×3, first 2 shown]
	v_add_f32_e32 v59, v29, v46
	v_fma_f32 v26, -0.5, v58, v20
	v_mov_b32_e32 v29, v25
	v_mov_b32_e32 v28, v24
	v_sub_f32_e32 v38, v11, v16
	v_add_f32_e32 v57, v52, v57
	v_mov_b32_e32 v46, v26
	v_fmac_f32_e32 v25, 0xbf737871, v40
	v_fmac_f32_e32 v24, 0x3f737871, v50
	v_fmac_f32_e32 v29, 0x3f737871, v40
	v_fmac_f32_e32 v28, 0xbf737871, v50
	v_add_co_u32_e32 v52, vcc, s8, v2
	v_fmac_f32_e32 v46, 0xbf737871, v51
	v_fmac_f32_e32 v25, 0xbf167918, v38
	;; [unrolled: 1-line block ×6, first 2 shown]
	v_addc_co_u32_e32 v53, vcc, v53, v3, vcc
	v_fmac_f32_e32 v46, 0x3f167918, v50
	v_fmac_f32_e32 v25, 0x3e9e377a, v22
	;; [unrolled: 1-line block ×6, first 2 shown]
	ds_read2st64_b32 v[50:51], v44 offset1:7
	global_load_dwordx4 v[2:5], v[52:53], off offset:2688
	global_load_dwordx4 v[20:23], v[52:53], off offset:2672
	v_add_u32_e32 v11, 0x1400, v44
	ds_read2_b32 v[52:53], v11 offset0:64 offset1:176
	v_mov_b32_e32 v47, v27
	v_fmac_f32_e32 v47, 0x3f737871, v38
	v_fmac_f32_e32 v27, 0xbf737871, v38
	;; [unrolled: 1-line block ×4, first 2 shown]
	s_waitcnt vmcnt(2) lgkmcnt(1)
	v_mul_f32_e32 v6, v34, v51
	v_mul_f32_e32 v38, v36, v39
	s_waitcnt lgkmcnt(0)
	v_mul_f32_e32 v40, v32, v53
	v_mul_f32_e32 v44, v30, v45
	v_fmac_f32_e32 v6, v8, v35
	v_fmac_f32_e32 v38, v14, v37
	;; [unrolled: 1-line block ×4, first 2 shown]
	v_sub_f32_e32 v11, v6, v38
	v_sub_f32_e32 v13, v40, v44
	v_fmac_f32_e32 v46, 0x3e9e377a, v57
	v_fmac_f32_e32 v26, 0x3e9e377a, v57
	v_add_f32_e32 v57, v11, v13
	v_mul_f32_e32 v11, v37, v39
	v_fma_f32 v36, v14, v36, -v11
	v_mul_f32_e32 v11, v31, v45
	v_fma_f32 v37, v15, v30, -v11
	;; [unrolled: 2-line block ×3, first 2 shown]
	v_mul_f32_e32 v11, v33, v53
	v_sub_f32_e32 v15, v38, v6
	v_sub_f32_e32 v16, v44, v40
	v_fma_f32 v32, v10, v32, -v11
	v_add_f32_e32 v10, v38, v44
	v_add_f32_e32 v51, v15, v16
	;; [unrolled: 1-line block ×3, first 2 shown]
	v_fma_f32 v11, -0.5, v10, v56
	v_sub_f32_e32 v10, v8, v36
	v_sub_f32_e32 v13, v32, v37
	;; [unrolled: 1-line block ×3, first 2 shown]
	v_fma_f32 v16, -0.5, v15, v56
	v_add_f32_e32 v6, v6, v56
	v_sub_f32_e32 v39, v36, v37
	v_add_f32_e32 v34, v10, v13
	v_add_f32_e32 v10, v36, v37
	v_mov_b32_e32 v31, v16
	v_sub_f32_e32 v15, v36, v8
	v_sub_f32_e32 v30, v37, v32
	v_add_f32_e32 v6, v38, v6
	v_sub_f32_e32 v33, v8, v32
	v_mov_b32_e32 v14, v11
	v_fma_f32 v10, -0.5, v10, v19
	v_fmac_f32_e32 v31, 0xbf737871, v39
	v_add_f32_e32 v53, v15, v30
	v_add_f32_e32 v15, v8, v32
	v_fmac_f32_e32 v16, 0x3f737871, v39
	v_add_f32_e32 v6, v44, v6
	v_fmac_f32_e32 v14, 0x3f737871, v33
	v_mov_b32_e32 v13, v10
	v_fmac_f32_e32 v31, 0x3f167918, v33
	v_fma_f32 v15, -0.5, v15, v19
	v_fmac_f32_e32 v16, 0xbf167918, v33
	v_fmac_f32_e32 v11, 0xbf737871, v33
	v_add_f32_e32 v33, v40, v6
	v_add_f32_e32 v6, v19, v8
	v_fmac_f32_e32 v13, 0xbf737871, v35
	v_sub_f32_e32 v45, v38, v44
	v_mov_b32_e32 v30, v15
	v_fmac_f32_e32 v10, 0x3f737871, v35
	v_add_f32_e32 v6, v6, v36
	v_fmac_f32_e32 v13, 0xbf167918, v45
	v_fmac_f32_e32 v30, 0x3f737871, v45
	;; [unrolled: 1-line block ×4, first 2 shown]
	v_add_f32_e32 v6, v6, v37
	v_fmac_f32_e32 v13, 0x3e9e377a, v34
	v_fmac_f32_e32 v30, 0xbf167918, v35
	;; [unrolled: 1-line block ×4, first 2 shown]
	v_add_f32_e32 v32, v32, v6
	v_fmac_f32_e32 v14, 0x3f167918, v39
	s_waitcnt vmcnt(1)
	v_mul_f32_e32 v34, v4, v52
	s_waitcnt vmcnt(0)
	v_mul_f32_e32 v6, v20, v54
	v_mul_f32_e32 v19, v22, v55
	;; [unrolled: 1-line block ×3, first 2 shown]
	v_fmac_f32_e32 v6, v18, v21
	v_fmac_f32_e32 v19, v17, v23
	;; [unrolled: 1-line block ×4, first 2 shown]
	v_mul_f32_e32 v3, v3, v41
	v_sub_f32_e32 v8, v6, v19
	v_sub_f32_e32 v36, v34, v35
	v_fma_f32 v12, v12, v2, -v3
	v_mul_f32_e32 v2, v21, v54
	v_add_f32_e32 v36, v8, v36
	v_mul_f32_e32 v8, v23, v55
	v_fma_f32 v21, v18, v20, -v2
	v_mul_f32_e32 v2, v5, v52
	v_fma_f32 v22, v17, v22, -v8
	v_fma_f32 v37, v9, v4, -v2
	v_add_f32_e32 v2, v19, v35
	v_fma_f32 v3, -0.5, v2, v50
	v_sub_f32_e32 v2, v21, v22
	v_sub_f32_e32 v4, v37, v12
	v_add_f32_e32 v20, v2, v4
	v_add_f32_e32 v2, v22, v12
	v_fma_f32 v2, -0.5, v2, v7
	v_sub_f32_e32 v8, v19, v6
	v_sub_f32_e32 v9, v35, v34
	v_fmac_f32_e32 v11, 0xbf167918, v39
	v_sub_f32_e32 v39, v6, v34
	v_mov_b32_e32 v4, v2
	v_add_f32_e32 v41, v8, v9
	v_add_f32_e32 v8, v6, v34
	;; [unrolled: 1-line block ×3, first 2 shown]
	v_fmac_f32_e32 v4, 0xbf737871, v39
	v_sub_f32_e32 v40, v19, v35
	v_fmac_f32_e32 v2, 0x3f737871, v39
	v_add_f32_e32 v6, v19, v6
	v_fmac_f32_e32 v4, 0xbf167918, v40
	v_fmac_f32_e32 v2, 0x3f167918, v40
	v_add_f32_e32 v6, v35, v6
	v_fmac_f32_e32 v4, 0x3e9e377a, v20
	v_fmac_f32_e32 v2, 0x3e9e377a, v20
	v_add_f32_e32 v20, v34, v6
	v_add_f32_e32 v6, v7, v21
	v_fma_f32 v9, -0.5, v8, v50
	v_sub_f32_e32 v8, v22, v21
	v_sub_f32_e32 v17, v12, v37
	v_add_f32_e32 v6, v6, v22
	v_add_f32_e32 v44, v8, v17
	;; [unrolled: 1-line block ×4, first 2 shown]
	v_fma_f32 v8, -0.5, v8, v7
	v_add_f32_e32 v19, v37, v6
	v_mad_u64_u32 v[6:7], s[0:1], s2, v42, 0
	v_sub_f32_e32 v23, v22, v12
	v_sub_f32_e32 v38, v21, v37
	v_mad_u64_u32 v[21:22], s[0:1], s3, v42, v[7:8]
	v_mov_b32_e32 v12, s13
	v_add_co_u32_e32 v34, vcc, s12, v0
	v_mov_b32_e32 v7, v21
	v_add_u32_e32 v21, 0x150, v42
	v_addc_co_u32_e32 v12, vcc, v12, v1, vcc
	v_lshlrev_b64 v[0:1], 3, v[6:7]
	v_mad_u64_u32 v[6:7], s[0:1], s2, v21, 0
	v_mov_b32_e32 v17, v8
	v_fmac_f32_e32 v8, 0x3f737871, v40
	v_fmac_f32_e32 v8, 0xbf167918, v39
	v_mov_b32_e32 v5, v3
	v_fmac_f32_e32 v8, 0x3e9e377a, v44
	v_fmac_f32_e32 v5, 0x3f737871, v38
	v_mov_b32_e32 v18, v9
	v_fmac_f32_e32 v3, 0xbf737871, v38
	v_mad_u64_u32 v[21:22], s[0:1], s3, v21, v[7:8]
	v_add_u32_e32 v35, 0x2a0, v42
	v_fmac_f32_e32 v5, 0x3f167918, v23
	v_fmac_f32_e32 v18, 0x3f737871, v23
	;; [unrolled: 1-line block ×4, first 2 shown]
	v_mad_u64_u32 v[22:23], s[0:1], s2, v35, 0
	v_add_co_u32_e32 v0, vcc, v34, v0
	v_addc_co_u32_e32 v1, vcc, v12, v1, vcc
	v_mov_b32_e32 v7, v21
	global_store_dwordx2 v[0:1], v[19:20], off
	v_lshlrev_b64 v[0:1], 3, v[6:7]
	v_mov_b32_e32 v6, v23
	v_mad_u64_u32 v[6:7], s[0:1], s3, v35, v[6:7]
	v_add_co_u32_e32 v0, vcc, v34, v0
	v_fmac_f32_e32 v3, 0x3e9e377a, v36
	v_addc_co_u32_e32 v1, vcc, v12, v1, vcc
	v_mov_b32_e32 v23, v6
	v_add_u32_e32 v6, 0x3f0, v42
	global_store_dwordx2 v[0:1], v[2:3], off
	v_mad_u64_u32 v[2:3], s[0:1], s2, v6, 0
	v_lshlrev_b64 v[0:1], 3, v[22:23]
	v_fmac_f32_e32 v17, 0xbf737871, v40
	v_mad_u64_u32 v[6:7], s[0:1], s3, v6, v[3:4]
	v_add_u32_e32 v7, 0x540, v42
	v_mad_u64_u32 v[19:20], s[0:1], s2, v7, 0
	v_fmac_f32_e32 v18, 0xbf167918, v38
	v_fmac_f32_e32 v17, 0x3f167918, v39
	v_add_co_u32_e32 v0, vcc, v34, v0
	v_fmac_f32_e32 v18, 0x3e9e377a, v41
	v_fmac_f32_e32 v17, 0x3e9e377a, v44
	v_addc_co_u32_e32 v1, vcc, v12, v1, vcc
	v_mov_b32_e32 v3, v6
	global_store_dwordx2 v[0:1], v[17:18], off
	v_lshlrev_b64 v[0:1], 3, v[2:3]
	v_mov_b32_e32 v2, v20
	v_mad_u64_u32 v[2:3], s[0:1], s3, v7, v[2:3]
	v_add_u32_e32 v6, 0x70, v42
	v_fmac_f32_e32 v9, 0x3f167918, v38
	v_mov_b32_e32 v20, v2
	v_mad_u64_u32 v[2:3], s[0:1], s2, v6, 0
	v_add_co_u32_e32 v0, vcc, v34, v0
	v_fmac_f32_e32 v9, 0x3e9e377a, v41
	v_addc_co_u32_e32 v1, vcc, v12, v1, vcc
	global_store_dwordx2 v[0:1], v[8:9], off
	v_mad_u64_u32 v[6:7], s[0:1], s3, v6, v[3:4]
	v_add_u32_e32 v9, 0x1c0, v42
	v_lshlrev_b64 v[0:1], 3, v[19:20]
	v_mad_u64_u32 v[7:8], s[0:1], s2, v9, 0
	v_add_co_u32_e32 v0, vcc, v34, v0
	v_fmac_f32_e32 v5, 0x3e9e377a, v36
	v_addc_co_u32_e32 v1, vcc, v12, v1, vcc
	v_mov_b32_e32 v3, v6
	global_store_dwordx2 v[0:1], v[4:5], off
	v_lshlrev_b64 v[0:1], 3, v[2:3]
	v_mov_b32_e32 v2, v8
	v_mad_u64_u32 v[2:3], s[0:1], s3, v9, v[2:3]
	v_add_co_u32_e32 v0, vcc, v34, v0
	v_mov_b32_e32 v8, v2
	v_mad_u64_u32 v[2:3], s[0:1], s2, v43, 0
	v_addc_co_u32_e32 v1, vcc, v12, v1, vcc
	v_mad_u64_u32 v[3:4], s[0:1], s3, v43, v[3:4]
	v_add_u32_e32 v6, 0x460, v42
	global_store_dwordx2 v[0:1], v[32:33], off
	v_lshlrev_b64 v[0:1], 3, v[7:8]
	v_mad_u64_u32 v[4:5], s[0:1], s2, v6, 0
	v_add_co_u32_e32 v0, vcc, v34, v0
	v_fmac_f32_e32 v11, 0x3e9e377a, v57
	v_addc_co_u32_e32 v1, vcc, v12, v1, vcc
	global_store_dwordx2 v[0:1], v[10:11], off
	v_lshlrev_b64 v[0:1], 3, v[2:3]
	v_mov_b32_e32 v2, v5
	v_mad_u64_u32 v[2:3], s[0:1], s3, v6, v[2:3]
	v_add_co_u32_e32 v0, vcc, v34, v0
	v_fmac_f32_e32 v16, 0x3e9e377a, v51
	v_fmac_f32_e32 v15, 0x3e9e377a, v53
	v_addc_co_u32_e32 v1, vcc, v12, v1, vcc
	v_mov_b32_e32 v5, v2
	global_store_dwordx2 v[0:1], v[15:16], off
	v_lshlrev_b64 v[0:1], 3, v[4:5]
	v_add_u32_e32 v4, 0x5b0, v42
	v_mad_u64_u32 v[2:3], s[0:1], s2, v4, 0
	v_add_u32_e32 v5, 0xe0, v42
	v_lshrrev_b32_e32 v6, 4, v5
	s_mov_b32 s0, 0x18618619
	v_mul_hi_u32 v6, v6, s0
	v_mad_u64_u32 v[3:4], s[0:1], s3, v4, v[3:4]
	v_add_co_u32_e32 v0, vcc, v34, v0
	v_lshrrev_b32_e32 v4, 1, v6
	v_mad_u32_u24 v6, v4, s4, v5
	v_mad_u64_u32 v[4:5], s[0:1], s2, v6, 0
	v_fmac_f32_e32 v31, 0x3e9e377a, v51
	v_fmac_f32_e32 v30, 0x3e9e377a, v53
	v_addc_co_u32_e32 v1, vcc, v12, v1, vcc
	global_store_dwordx2 v[0:1], v[30:31], off
	v_lshlrev_b64 v[0:1], 3, v[2:3]
	v_mov_b32_e32 v2, v5
	v_mad_u64_u32 v[2:3], s[0:1], s3, v6, v[2:3]
	v_add_co_u32_e32 v0, vcc, v34, v0
	v_fmac_f32_e32 v14, 0x3e9e377a, v57
	v_addc_co_u32_e32 v1, vcc, v12, v1, vcc
	v_mov_b32_e32 v5, v2
	global_store_dwordx2 v[0:1], v[13:14], off
	v_lshlrev_b64 v[0:1], 3, v[4:5]
	v_add_u32_e32 v4, 0x150, v6
	v_mad_u64_u32 v[2:3], s[0:1], s2, v4, 0
	v_add_u32_e32 v7, 0x2a0, v6
	v_add_co_u32_e32 v0, vcc, v34, v0
	v_mad_u64_u32 v[3:4], s[0:1], s3, v4, v[3:4]
	v_mad_u64_u32 v[4:5], s[0:1], s2, v7, 0
	v_addc_co_u32_e32 v1, vcc, v12, v1, vcc
	global_store_dwordx2 v[0:1], v[48:49], off
	v_lshlrev_b64 v[0:1], 3, v[2:3]
	v_mov_b32_e32 v2, v5
	v_mad_u64_u32 v[2:3], s[0:1], s3, v7, v[2:3]
	v_add_co_u32_e32 v0, vcc, v34, v0
	v_addc_co_u32_e32 v1, vcc, v12, v1, vcc
	v_mov_b32_e32 v5, v2
	global_store_dwordx2 v[0:1], v[24:25], off
	v_lshlrev_b64 v[0:1], 3, v[4:5]
	v_add_u32_e32 v4, 0x3f0, v6
	v_mad_u64_u32 v[2:3], s[0:1], s2, v4, 0
	v_add_u32_e32 v6, 0x540, v6
	v_add_co_u32_e32 v0, vcc, v34, v0
	v_mad_u64_u32 v[3:4], s[0:1], s3, v4, v[3:4]
	v_mad_u64_u32 v[4:5], s[0:1], s2, v6, 0
	v_fmac_f32_e32 v47, 0x3e9e377a, v59
	v_addc_co_u32_e32 v1, vcc, v12, v1, vcc
	global_store_dwordx2 v[0:1], v[46:47], off
	v_lshlrev_b64 v[0:1], 3, v[2:3]
	v_mov_b32_e32 v2, v5
	v_mad_u64_u32 v[2:3], s[0:1], s3, v6, v[2:3]
	v_add_co_u32_e32 v0, vcc, v34, v0
	v_fmac_f32_e32 v27, 0x3e9e377a, v59
	v_addc_co_u32_e32 v1, vcc, v12, v1, vcc
	v_mov_b32_e32 v5, v2
	global_store_dwordx2 v[0:1], v[26:27], off
	v_lshlrev_b64 v[0:1], 3, v[4:5]
	v_add_co_u32_e32 v0, vcc, v34, v0
	v_addc_co_u32_e32 v1, vcc, v12, v1, vcc
	global_store_dwordx2 v[0:1], v[28:29], off
.LBB0_53:
	s_endpgm
	.section	.rodata,"a",@progbits
	.p2align	6, 0x0
	.amdhsa_kernel fft_rtc_fwd_len1680_factors_2_2_2_2_3_7_5_wgs_112_tpt_112_halfLds_sp_ip_CI_sbrr_dirReg
		.amdhsa_group_segment_fixed_size 0
		.amdhsa_private_segment_fixed_size 0
		.amdhsa_kernarg_size 88
		.amdhsa_user_sgpr_count 6
		.amdhsa_user_sgpr_private_segment_buffer 1
		.amdhsa_user_sgpr_dispatch_ptr 0
		.amdhsa_user_sgpr_queue_ptr 0
		.amdhsa_user_sgpr_kernarg_segment_ptr 1
		.amdhsa_user_sgpr_dispatch_id 0
		.amdhsa_user_sgpr_flat_scratch_init 0
		.amdhsa_user_sgpr_private_segment_size 0
		.amdhsa_uses_dynamic_stack 0
		.amdhsa_system_sgpr_private_segment_wavefront_offset 0
		.amdhsa_system_sgpr_workgroup_id_x 1
		.amdhsa_system_sgpr_workgroup_id_y 0
		.amdhsa_system_sgpr_workgroup_id_z 0
		.amdhsa_system_sgpr_workgroup_info 0
		.amdhsa_system_vgpr_workitem_id 0
		.amdhsa_next_free_vgpr 80
		.amdhsa_next_free_sgpr 24
		.amdhsa_reserve_vcc 1
		.amdhsa_reserve_flat_scratch 0
		.amdhsa_float_round_mode_32 0
		.amdhsa_float_round_mode_16_64 0
		.amdhsa_float_denorm_mode_32 3
		.amdhsa_float_denorm_mode_16_64 3
		.amdhsa_dx10_clamp 1
		.amdhsa_ieee_mode 1
		.amdhsa_fp16_overflow 0
		.amdhsa_exception_fp_ieee_invalid_op 0
		.amdhsa_exception_fp_denorm_src 0
		.amdhsa_exception_fp_ieee_div_zero 0
		.amdhsa_exception_fp_ieee_overflow 0
		.amdhsa_exception_fp_ieee_underflow 0
		.amdhsa_exception_fp_ieee_inexact 0
		.amdhsa_exception_int_div_zero 0
	.end_amdhsa_kernel
	.text
.Lfunc_end0:
	.size	fft_rtc_fwd_len1680_factors_2_2_2_2_3_7_5_wgs_112_tpt_112_halfLds_sp_ip_CI_sbrr_dirReg, .Lfunc_end0-fft_rtc_fwd_len1680_factors_2_2_2_2_3_7_5_wgs_112_tpt_112_halfLds_sp_ip_CI_sbrr_dirReg
                                        ; -- End function
	.section	.AMDGPU.csdata,"",@progbits
; Kernel info:
; codeLenInByte = 12092
; NumSgprs: 28
; NumVgprs: 80
; ScratchSize: 0
; MemoryBound: 0
; FloatMode: 240
; IeeeMode: 1
; LDSByteSize: 0 bytes/workgroup (compile time only)
; SGPRBlocks: 3
; VGPRBlocks: 19
; NumSGPRsForWavesPerEU: 28
; NumVGPRsForWavesPerEU: 80
; Occupancy: 3
; WaveLimiterHint : 1
; COMPUTE_PGM_RSRC2:SCRATCH_EN: 0
; COMPUTE_PGM_RSRC2:USER_SGPR: 6
; COMPUTE_PGM_RSRC2:TRAP_HANDLER: 0
; COMPUTE_PGM_RSRC2:TGID_X_EN: 1
; COMPUTE_PGM_RSRC2:TGID_Y_EN: 0
; COMPUTE_PGM_RSRC2:TGID_Z_EN: 0
; COMPUTE_PGM_RSRC2:TIDIG_COMP_CNT: 0
	.type	__hip_cuid_88a74626e1f5af35,@object ; @__hip_cuid_88a74626e1f5af35
	.section	.bss,"aw",@nobits
	.globl	__hip_cuid_88a74626e1f5af35
__hip_cuid_88a74626e1f5af35:
	.byte	0                               ; 0x0
	.size	__hip_cuid_88a74626e1f5af35, 1

	.ident	"AMD clang version 19.0.0git (https://github.com/RadeonOpenCompute/llvm-project roc-6.4.0 25133 c7fe45cf4b819c5991fe208aaa96edf142730f1d)"
	.section	".note.GNU-stack","",@progbits
	.addrsig
	.addrsig_sym __hip_cuid_88a74626e1f5af35
	.amdgpu_metadata
---
amdhsa.kernels:
  - .args:
      - .actual_access:  read_only
        .address_space:  global
        .offset:         0
        .size:           8
        .value_kind:     global_buffer
      - .offset:         8
        .size:           8
        .value_kind:     by_value
      - .actual_access:  read_only
        .address_space:  global
        .offset:         16
        .size:           8
        .value_kind:     global_buffer
      - .actual_access:  read_only
        .address_space:  global
        .offset:         24
        .size:           8
        .value_kind:     global_buffer
      - .offset:         32
        .size:           8
        .value_kind:     by_value
      - .actual_access:  read_only
        .address_space:  global
        .offset:         40
        .size:           8
        .value_kind:     global_buffer
      - .actual_access:  read_only
        .address_space:  global
        .offset:         48
        .size:           8
        .value_kind:     global_buffer
      - .offset:         56
        .size:           4
        .value_kind:     by_value
      - .actual_access:  read_only
        .address_space:  global
        .offset:         64
        .size:           8
        .value_kind:     global_buffer
      - .actual_access:  read_only
        .address_space:  global
        .offset:         72
        .size:           8
        .value_kind:     global_buffer
      - .address_space:  global
        .offset:         80
        .size:           8
        .value_kind:     global_buffer
    .group_segment_fixed_size: 0
    .kernarg_segment_align: 8
    .kernarg_segment_size: 88
    .language:       OpenCL C
    .language_version:
      - 2
      - 0
    .max_flat_workgroup_size: 112
    .name:           fft_rtc_fwd_len1680_factors_2_2_2_2_3_7_5_wgs_112_tpt_112_halfLds_sp_ip_CI_sbrr_dirReg
    .private_segment_fixed_size: 0
    .sgpr_count:     28
    .sgpr_spill_count: 0
    .symbol:         fft_rtc_fwd_len1680_factors_2_2_2_2_3_7_5_wgs_112_tpt_112_halfLds_sp_ip_CI_sbrr_dirReg.kd
    .uniform_work_group_size: 1
    .uses_dynamic_stack: false
    .vgpr_count:     80
    .vgpr_spill_count: 0
    .wavefront_size: 64
amdhsa.target:   amdgcn-amd-amdhsa--gfx906
amdhsa.version:
  - 1
  - 2
...

	.end_amdgpu_metadata
